;; amdgpu-corpus repo=ROCm/rocFFT kind=compiled arch=gfx1030 opt=O3
	.text
	.amdgcn_target "amdgcn-amd-amdhsa--gfx1030"
	.amdhsa_code_object_version 6
	.protected	bluestein_single_back_len320_dim1_dp_op_CI_CI ; -- Begin function bluestein_single_back_len320_dim1_dp_op_CI_CI
	.globl	bluestein_single_back_len320_dim1_dp_op_CI_CI
	.p2align	8
	.type	bluestein_single_back_len320_dim1_dp_op_CI_CI,@function
bluestein_single_back_len320_dim1_dp_op_CI_CI: ; @bluestein_single_back_len320_dim1_dp_op_CI_CI
; %bb.0:
	s_load_dwordx4 s[16:19], s[4:5], 0x28
	v_lshrrev_b32_e32 v1, 4, v0
	s_mov_b64 s[30:31], s[2:3]
	s_mov_b64 s[28:29], s[0:1]
	v_mov_b32_e32 v146, 0
	s_add_u32 s28, s28, s7
	v_lshl_or_b32 v145, s6, 2, v1
	s_addc_u32 s29, s29, 0
	s_mov_b32 s0, exec_lo
	s_waitcnt lgkmcnt(0)
	v_cmpx_gt_u64_e64 s[16:17], v[145:146]
	s_cbranch_execz .LBB0_2
; %bb.1:
	s_clause 0x1
	s_load_dwordx4 s[0:3], s[4:5], 0x18
	s_load_dwordx4 s[8:11], s[4:5], 0x0
	v_and_b32_e32 v180, 15, v0
	s_mov_b32 s16, 0x134454ff
	s_mov_b32 s17, 0x3fee6f0e
	;; [unrolled: 1-line block ×4, first 2 shown]
	v_lshlrev_b32_e32 v201, 4, v180
	s_mov_b32 s23, 0xbfd3c6ef
	s_mov_b32 s25, 0xbfe9e377
	;; [unrolled: 1-line block ×3, first 2 shown]
	v_or_b32_e32 v183, 0x800, v201
	v_or_b32_e32 v184, 0xa00, v201
	;; [unrolled: 1-line block ×5, first 2 shown]
	s_waitcnt lgkmcnt(0)
	s_load_dwordx4 s[12:15], s[0:1], 0x0
	s_add_u32 s6, s8, 0x1400
	s_addc_u32 s7, s9, 0
	s_waitcnt lgkmcnt(0)
	v_mad_u64_u32 v[2:3], null, s14, v145, 0
	v_mad_u64_u32 v[4:5], null, s12, v180, 0
	s_lshl_b64 s[0:1], s[12:13], 9
	v_mad_u64_u32 v[6:7], null, s15, v145, v[3:4]
	s_mov_b32 s15, 0xbfe2cf23
	v_mad_u64_u32 v[7:8], null, s13, v180, v[5:6]
	v_mov_b32_e32 v3, v6
	s_mulk_i32 s13, 0xef00
	v_lshlrev_b64 v[2:3], 4, v[2:3]
	v_mov_b32_e32 v5, v7
	v_add_co_u32 v2, vcc_lo, s18, v2
	v_lshlrev_b64 v[4:5], 4, v[4:5]
	v_add_co_ci_u32_e32 v3, vcc_lo, s19, v3, vcc_lo
	s_mov_b32 s19, 0xbfee6f0e
	s_mov_b32 s18, s16
	v_add_co_u32 v2, vcc_lo, v2, v4
	v_add_co_ci_u32_e32 v3, vcc_lo, v3, v5, vcc_lo
	global_load_dwordx4 v[20:23], v201, s[8:9]
	global_load_dwordx4 v[29:32], v[2:3], off
	global_load_dwordx4 v[24:27], v201, s[8:9] offset:512
	v_add_co_u32 v2, vcc_lo, v2, s0
	v_add_co_ci_u32_e32 v3, vcc_lo, s1, v3, vcc_lo
	v_add_co_u32 v4, vcc_lo, v2, s0
	v_add_co_ci_u32_e32 v5, vcc_lo, s1, v3, vcc_lo
	global_load_dwordx4 v[37:40], v[2:3], off
	global_load_dwordx4 v[33:36], v201, s[8:9] offset:1024
	global_load_dwordx4 v[53:56], v[4:5], off
	v_add_co_u32 v2, vcc_lo, v4, s0
	v_add_co_ci_u32_e32 v3, vcc_lo, s1, v5, vcc_lo
	global_load_dwordx4 v[41:44], v201, s[8:9] offset:1536
	global_load_dwordx4 v[57:60], v[2:3], off
	v_add_co_u32 v2, vcc_lo, v2, s0
	v_add_co_ci_u32_e32 v3, vcc_lo, s1, v3, vcc_lo
	global_load_dwordx4 v[16:19], v183, s[8:9]
	global_load_dwordx4 v[61:64], v[2:3], off
	v_add_co_u32 v2, vcc_lo, v2, s0
	v_add_co_ci_u32_e32 v3, vcc_lo, s1, v3, vcc_lo
	global_load_dwordx4 v[12:15], v184, s[8:9]
	global_load_dwordx4 v[65:68], v[2:3], off
	v_or_b32_e32 v4, 0xc00, v201
	v_add_co_u32 v2, vcc_lo, v2, s0
	v_add_co_ci_u32_e32 v3, vcc_lo, s1, v3, vcc_lo
	buffer_store_dword v4, off, s[28:31], 0 offset:460 ; 4-byte Folded Spill
	global_load_dwordx4 v[49:52], v4, s[8:9]
	global_load_dwordx4 v[69:72], v[2:3], off
	v_or_b32_e32 v4, 0xe00, v201
	v_add_co_u32 v2, vcc_lo, v2, s0
	v_add_co_ci_u32_e32 v3, vcc_lo, s1, v3, vcc_lo
	buffer_store_dword v4, off, s[28:31], 0 offset:464 ; 4-byte Folded Spill
	;; [unrolled: 6-line block ×3, first 2 shown]
	global_load_dwordx4 v[129:132], v4, s[8:9]
	global_load_dwordx4 v[85:88], v[2:3], off
	v_add_co_u32 v2, vcc_lo, v2, s0
	v_add_co_ci_u32_e32 v3, vcc_lo, s1, v3, vcc_lo
	global_load_dwordx4 v[77:80], v247, s[8:9]
	global_load_dwordx4 v[89:92], v[2:3], off
	v_mad_u64_u32 v[2:3], null, 0xffffef00, s12, v[2:3]
	s_sub_i32 s12, s13, s12
	v_add_nc_u32_e32 v3, s12, v3
	global_load_dwordx4 v[133:136], v201, s[8:9] offset:256
	global_load_dwordx4 v[93:96], v[2:3], off
	v_add_co_u32 v2, vcc_lo, v2, s0
	v_add_co_ci_u32_e32 v3, vcc_lo, s1, v3, vcc_lo
	global_load_dwordx4 v[137:140], v201, s[8:9] offset:768
	global_load_dwordx4 v[97:100], v[2:3], off
	v_add_co_u32 v2, vcc_lo, v2, s0
	v_add_co_ci_u32_e32 v3, vcc_lo, s1, v3, vcc_lo
	s_mov_b32 s12, 0x372fe950
	s_mov_b32 s13, 0x3fd3c6ef
	;; [unrolled: 1-line block ×3, first 2 shown]
	s_waitcnt vmcnt(23)
	buffer_store_dword v20, off, s[28:31], 0 offset:256 ; 4-byte Folded Spill
	buffer_store_dword v21, off, s[28:31], 0 offset:260 ; 4-byte Folded Spill
	;; [unrolled: 1-line block ×4, first 2 shown]
	global_load_dwordx4 v[45:48], v201, s[8:9] offset:1280
	s_waitcnt vmcnt(22)
	buffer_store_dword v24, off, s[28:31], 0 offset:224 ; 4-byte Folded Spill
	buffer_store_dword v25, off, s[28:31], 0 offset:228 ; 4-byte Folded Spill
	;; [unrolled: 1-line block ×4, first 2 shown]
	s_waitcnt vmcnt(20)
	buffer_store_dword v33, off, s[28:31], 0 offset:304 ; 4-byte Folded Spill
	buffer_store_dword v34, off, s[28:31], 0 offset:308 ; 4-byte Folded Spill
	;; [unrolled: 1-line block ×4, first 2 shown]
	v_mul_f64 v[4:5], v[31:32], v[22:23]
	v_mul_f64 v[6:7], v[29:30], v[22:23]
	;; [unrolled: 1-line block ×4, first 2 shown]
	v_fma_f64 v[101:102], v[29:30], v[20:21], v[4:5]
	v_fma_f64 v[103:104], v[31:32], v[20:21], -v[6:7]
	v_fma_f64 v[105:106], v[37:38], v[24:25], v[8:9]
	v_fma_f64 v[107:108], v[39:40], v[24:25], -v[10:11]
	global_load_dwordx4 v[8:11], v201, s[8:9] offset:1792
	s_waitcnt vmcnt(19)
	buffer_store_dword v41, off, s[28:31], 0 offset:240 ; 4-byte Folded Spill
	buffer_store_dword v42, off, s[28:31], 0 offset:244 ; 4-byte Folded Spill
	buffer_store_dword v43, off, s[28:31], 0 offset:248 ; 4-byte Folded Spill
	buffer_store_dword v44, off, s[28:31], 0 offset:252 ; 4-byte Folded Spill
	s_waitcnt vmcnt(17)
	buffer_store_dword v16, off, s[28:31], 0 offset:272 ; 4-byte Folded Spill
	buffer_store_dword v17, off, s[28:31], 0 offset:276 ; 4-byte Folded Spill
	buffer_store_dword v18, off, s[28:31], 0 offset:280 ; 4-byte Folded Spill
	buffer_store_dword v19, off, s[28:31], 0 offset:284 ; 4-byte Folded Spill
	;; [unrolled: 5-line block ×9, first 2 shown]
	global_load_dwordx4 v[37:40], v[2:3], off
	s_waitcnt vmcnt(2)
	buffer_store_dword v45, off, s[28:31], 0 offset:112 ; 4-byte Folded Spill
	buffer_store_dword v46, off, s[28:31], 0 offset:116 ; 4-byte Folded Spill
	;; [unrolled: 1-line block ×4, first 2 shown]
	v_mul_f64 v[4:5], v[55:56], v[35:36]
	v_mul_f64 v[6:7], v[53:54], v[35:36]
	v_add_co_u32 v2, vcc_lo, v2, s0
	v_add_co_ci_u32_e32 v3, vcc_lo, s1, v3, vcc_lo
	v_fma_f64 v[109:110], v[53:54], v[33:34], v[4:5]
	v_fma_f64 v[111:112], v[55:56], v[33:34], -v[6:7]
	v_mul_f64 v[4:5], v[59:60], v[43:44]
	v_mul_f64 v[6:7], v[57:58], v[43:44]
	v_fma_f64 v[113:114], v[57:58], v[41:42], v[4:5]
	v_fma_f64 v[115:116], v[59:60], v[41:42], -v[6:7]
	v_mul_f64 v[4:5], v[63:64], v[18:19]
	v_mul_f64 v[6:7], v[61:62], v[18:19]
	;; [unrolled: 4-line block ×9, first 2 shown]
	v_fma_f64 v[97:98], v[97:98], v[137:138], v[4:5]
	v_fma_f64 v[99:100], v[99:100], v[137:138], -v[6:7]
	s_waitcnt vmcnt(0)
	v_mul_f64 v[4:5], v[39:40], v[47:48]
	v_mul_f64 v[6:7], v[37:38], v[47:48]
	v_fma_f64 v[129:130], v[37:38], v[45:46], v[4:5]
	v_fma_f64 v[131:132], v[39:40], v[45:46], -v[6:7]
	global_load_dwordx4 v[37:40], v[2:3], off
	buffer_store_dword v8, off, s[28:31], 0 offset:96 ; 4-byte Folded Spill
	buffer_store_dword v9, off, s[28:31], 0 offset:100 ; 4-byte Folded Spill
	buffer_store_dword v10, off, s[28:31], 0 offset:104 ; 4-byte Folded Spill
	buffer_store_dword v11, off, s[28:31], 0 offset:108 ; 4-byte Folded Spill
	v_add_co_u32 v2, vcc_lo, v2, s0
	v_add_co_ci_u32_e32 v3, vcc_lo, s1, v3, vcc_lo
	s_waitcnt vmcnt(0)
	v_mul_f64 v[4:5], v[39:40], v[10:11]
	v_mul_f64 v[6:7], v[37:38], v[10:11]
	v_fma_f64 v[133:134], v[37:38], v[8:9], v[4:5]
	v_fma_f64 v[135:136], v[39:40], v[8:9], -v[6:7]
	global_load_dwordx4 v[8:11], v202, s[8:9]
	s_waitcnt vmcnt(0)
	buffer_store_dword v8, off, s[28:31], 0 offset:80 ; 4-byte Folded Spill
	buffer_store_dword v9, off, s[28:31], 0 offset:84 ; 4-byte Folded Spill
	buffer_store_dword v10, off, s[28:31], 0 offset:88 ; 4-byte Folded Spill
	buffer_store_dword v11, off, s[28:31], 0 offset:92 ; 4-byte Folded Spill
	global_load_dwordx4 v[37:40], v[2:3], off
	v_add_co_u32 v2, vcc_lo, v2, s0
	v_add_co_ci_u32_e32 v3, vcc_lo, s1, v3, vcc_lo
	s_waitcnt vmcnt(0)
	v_mul_f64 v[4:5], v[39:40], v[10:11]
	v_mul_f64 v[6:7], v[37:38], v[10:11]
	v_fma_f64 v[137:138], v[37:38], v[8:9], v[4:5]
	v_or_b32_e32 v4, 0xb00, v201
	v_fma_f64 v[139:140], v[39:40], v[8:9], -v[6:7]
	global_load_dwordx4 v[8:11], v4, s[8:9]
	buffer_store_dword v4, off, s[28:31], 0 offset:476 ; 4-byte Folded Spill
	s_waitcnt vmcnt(0)
	buffer_store_dword v8, off, s[28:31], 0 offset:64 ; 4-byte Folded Spill
	buffer_store_dword v9, off, s[28:31], 0 offset:68 ; 4-byte Folded Spill
	buffer_store_dword v10, off, s[28:31], 0 offset:72 ; 4-byte Folded Spill
	buffer_store_dword v11, off, s[28:31], 0 offset:76 ; 4-byte Folded Spill
	global_load_dwordx4 v[37:40], v[2:3], off
	v_add_co_u32 v2, vcc_lo, v2, s0
	v_add_co_ci_u32_e32 v3, vcc_lo, s1, v3, vcc_lo
	s_waitcnt vmcnt(0)
	v_mul_f64 v[4:5], v[39:40], v[10:11]
	v_mul_f64 v[6:7], v[37:38], v[10:11]
	v_fma_f64 v[141:142], v[37:38], v[8:9], v[4:5]
	v_or_b32_e32 v4, 0xd00, v201
	v_fma_f64 v[143:144], v[39:40], v[8:9], -v[6:7]
	global_load_dwordx4 v[8:11], v4, s[8:9]
	buffer_store_dword v4, off, s[28:31], 0 offset:472 ; 4-byte Folded Spill
	;; [unrolled: 16-line block ×4, first 2 shown]
	s_waitcnt vmcnt(0)
	buffer_store_dword v8, off, s[28:31], 0 offset:16 ; 4-byte Folded Spill
	buffer_store_dword v9, off, s[28:31], 0 offset:20 ; 4-byte Folded Spill
	;; [unrolled: 1-line block ×4, first 2 shown]
	global_load_dwordx4 v[37:40], v[2:3], off
	v_add_co_u32 v2, vcc_lo, v2, s0
	v_add_co_ci_u32_e32 v3, vcc_lo, s1, v3, vcc_lo
	v_cmp_gt_u32_e32 vcc_lo, 10, v180
	s_waitcnt vmcnt(0)
	v_mul_f64 v[4:5], v[39:40], v[10:11]
	v_mul_f64 v[6:7], v[37:38], v[10:11]
	v_fma_f64 v[155:156], v[37:38], v[8:9], v[4:5]
	v_fma_f64 v[157:158], v[39:40], v[8:9], -v[6:7]
	global_load_dwordx4 v[159:162], v[2:3], off
	global_load_dwordx4 v[6:9], v246, s[8:9]
	s_mov_b32 s8, 0x4755a5e
	s_mov_b32 s9, 0x3fe2cf23
	;; [unrolled: 1-line block ×3, first 2 shown]
	s_waitcnt vmcnt(0)
	buffer_store_dword v6, off, s[28:31], 0 ; 4-byte Folded Spill
	buffer_store_dword v7, off, s[28:31], 0 offset:4 ; 4-byte Folded Spill
	buffer_store_dword v8, off, s[28:31], 0 offset:8 ; 4-byte Folded Spill
	;; [unrolled: 1-line block ×3, first 2 shown]
	v_mul_f64 v[2:3], v[161:162], v[8:9]
	v_mul_f64 v[4:5], v[159:160], v[8:9]
	v_fma_f64 v[163:164], v[159:160], v[6:7], v[2:3]
	v_fma_f64 v[165:166], v[161:162], v[6:7], -v[4:5]
	v_mul_u32_u24_e32 v159, 0x140, v1
	v_or_b32_e32 v1, v159, v180
	v_lshl_or_b32 v203, v159, 4, v201
	v_lshlrev_b32_e32 v204, 4, v1
	ds_write_b128 v204, v[101:104]
	ds_write_b128 v204, v[105:108] offset:512
	ds_write_b128 v203, v[109:112] offset:1024
	;; [unrolled: 1-line block ×13, first 2 shown]
	s_load_dwordx4 s[0:3], s[2:3], 0x0
	ds_write_b128 v203, v[137:140] offset:2304
	ds_write_b128 v203, v[141:144] offset:2816
	;; [unrolled: 1-line block ×6, first 2 shown]
	s_waitcnt lgkmcnt(0)
	s_waitcnt_vscnt null, 0x0
	s_barrier
	buffer_gl0_inv
	ds_read_b128 v[81:84], v204
	ds_read_b128 v[85:88], v203 offset:1024
	ds_read_b128 v[89:92], v203 offset:1280
	;; [unrolled: 1-line block ×7, first 2 shown]
	s_waitcnt lgkmcnt(6)
	v_add_f64 v[1:2], v[81:82], v[85:86]
	v_add_f64 v[3:4], v[83:84], v[87:88]
	s_waitcnt lgkmcnt(3)
	v_add_f64 v[9:10], v[85:86], -v[97:98]
	s_waitcnt lgkmcnt(1)
	v_add_f64 v[5:6], v[97:98], v[105:106]
	v_add_f64 v[7:8], v[99:100], -v[107:108]
	v_add_f64 v[11:12], v[97:98], -v[85:86]
	v_add_f64 v[13:14], v[99:100], v[107:108]
	v_add_f64 v[15:16], v[97:98], -v[105:106]
	v_add_f64 v[17:18], v[87:88], -v[99:100]
	;; [unrolled: 1-line block ×3, first 2 shown]
	v_add_f64 v[73:74], v[93:94], v[89:90]
	v_add_f64 v[75:76], v[95:96], v[91:92]
	s_waitcnt lgkmcnt(0)
	v_add_f64 v[153:154], v[101:102], -v[109:110]
	v_add_f64 v[151:152], v[103:104], -v[111:112]
	v_add_f64 v[1:2], v[1:2], v[97:98]
	v_add_f64 v[3:4], v[3:4], v[99:100]
	ds_read_b128 v[97:100], v203 offset:4096
	ds_read_b128 v[113:116], v203 offset:4352
	v_fma_f64 v[5:6], v[5:6], -0.5, v[81:82]
	v_fma_f64 v[13:14], v[13:14], -0.5, v[83:84]
	v_add_f64 v[73:74], v[73:74], v[101:102]
	v_add_f64 v[75:76], v[75:76], v[103:104]
	s_waitcnt lgkmcnt(1)
	v_add_f64 v[21:22], v[87:88], -v[99:100]
	v_add_f64 v[1:2], v[1:2], v[105:106]
	v_add_f64 v[3:4], v[3:4], v[107:108]
	v_add_f64 v[23:24], v[85:86], v[97:98]
	v_add_f64 v[25:26], v[85:86], -v[97:98]
	v_add_f64 v[27:28], v[87:88], v[99:100]
	v_add_f64 v[29:30], v[97:98], -v[105:106]
	v_add_f64 v[31:32], v[105:106], -v[97:98]
	;; [unrolled: 1-line block ×4, first 2 shown]
	s_waitcnt lgkmcnt(0)
	v_add_f64 v[77:78], v[89:90], v[113:114]
	v_add_f64 v[149:150], v[89:90], -v[113:114]
	v_add_f64 v[79:80], v[91:92], v[115:116]
	v_add_f64 v[147:148], v[91:92], -v[115:116]
	;; [unrolled: 2-line block ×3, first 2 shown]
	v_add_f64 v[143:144], v[109:110], -v[113:114]
	v_add_f64 v[75:76], v[75:76], v[111:112]
	v_add_f64 v[155:156], v[115:116], -v[111:112]
	v_add_f64 v[157:158], v[111:112], -v[115:116]
	v_add_f64 v[1:2], v[1:2], v[97:98]
	v_add_f64 v[3:4], v[3:4], v[99:100]
	ds_read_b128 v[85:88], v204 offset:512
	ds_read_b128 v[97:100], v203 offset:1536
	;; [unrolled: 1-line block ×8, first 2 shown]
	v_fma_f64 v[23:24], v[23:24], -0.5, v[81:82]
	v_fma_f64 v[27:28], v[27:28], -0.5, v[83:84]
	v_add_f64 v[11:12], v[11:12], v[31:32]
	v_add_f64 v[19:20], v[19:20], v[35:36]
	v_add_f64 v[73:74], v[73:74], v[113:114]
	v_add_f64 v[75:76], v[75:76], v[115:116]
	s_waitcnt lgkmcnt(6)
	v_add_f64 v[37:38], v[85:86], v[97:98]
	v_add_f64 v[39:40], v[87:88], v[99:100]
	s_waitcnt lgkmcnt(3)
	v_add_f64 v[45:46], v[97:98], -v[121:122]
	s_waitcnt lgkmcnt(1)
	v_add_f64 v[41:42], v[121:122], v[129:130]
	v_add_f64 v[43:44], v[123:124], -v[131:132]
	v_add_f64 v[47:48], v[121:122], -v[97:98]
	v_add_f64 v[49:50], v[123:124], v[131:132]
	v_add_f64 v[51:52], v[121:122], -v[129:130]
	v_add_f64 v[53:54], v[99:100], -v[123:124]
	;; [unrolled: 1-line block ×7, first 2 shown]
	s_waitcnt lgkmcnt(0)
	v_add_f64 v[172:173], v[127:128], -v[135:136]
	v_add_f64 v[174:175], v[125:126], -v[133:134]
	v_add_f64 v[37:38], v[37:38], v[121:122]
	v_add_f64 v[39:40], v[39:40], v[123:124]
	ds_read_b128 v[121:124], v203 offset:4608
	ds_read_b128 v[137:140], v203 offset:4864
	v_fma_f64 v[41:42], v[41:42], -0.5, v[85:86]
	s_waitcnt lgkmcnt(0)
	s_barrier
	v_fma_f64 v[49:50], v[49:50], -0.5, v[87:88]
	buffer_gl0_inv
	v_add_f64 v[59:60], v[97:98], v[121:122]
	v_add_f64 v[37:38], v[37:38], v[129:130]
	v_add_f64 v[57:58], v[99:100], -v[123:124]
	v_add_f64 v[61:62], v[97:98], -v[121:122]
	v_add_f64 v[65:66], v[121:122], -v[129:130]
	v_add_f64 v[69:70], v[123:124], -v[131:132]
	v_add_f64 v[63:64], v[99:100], v[123:124]
	v_add_f64 v[39:40], v[39:40], v[131:132]
	v_add_f64 v[71:72], v[131:132], -v[123:124]
	v_add_f64 v[67:68], v[129:130], -v[121:122]
	;; [unrolled: 1-line block ×3, first 2 shown]
	v_add_f64 v[97:98], v[117:118], v[105:106]
	v_add_f64 v[166:167], v[105:106], -v[137:138]
	v_add_f64 v[131:132], v[103:104], -v[91:92]
	v_add_f64 v[99:100], v[119:120], v[107:108]
	v_add_f64 v[160:161], v[107:108], -v[139:140]
	v_fma_f64 v[59:60], v[59:60], -0.5, v[85:86]
	v_add_f64 v[37:38], v[37:38], v[121:122]
	v_add_f64 v[121:122], v[89:90], -v[101:102]
	v_add_f64 v[89:90], v[101:102], v[109:110]
	v_add_f64 v[101:102], v[105:106], v[137:138]
	;; [unrolled: 1-line block ×3, first 2 shown]
	v_fma_f64 v[63:64], v[63:64], -0.5, v[87:88]
	v_add_f64 v[39:40], v[39:40], v[123:124]
	v_add_f64 v[123:124], v[91:92], -v[103:104]
	v_add_f64 v[31:32], v[47:48], v[67:68]
	v_add_f64 v[91:92], v[103:104], v[111:112]
	;; [unrolled: 1-line block ×6, first 2 shown]
	v_add_f64 v[125:126], v[137:138], -v[133:134]
	v_add_f64 v[127:128], v[139:140], -v[135:136]
	v_add_f64 v[81:82], v[1:2], v[37:38]
	v_add_f64 v[85:86], v[1:2], -v[37:38]
	v_mul_u32_u24_e32 v1, 10, v180
	v_mov_b32_e32 v2, v0
	v_fma_f64 v[176:177], v[105:106], -0.5, v[117:118]
	v_fma_f64 v[35:36], v[51:52], s[16:17], v[63:64]
	v_add_f64 v[83:84], v[3:4], v[39:40]
	v_add_lshl_u32 v181, v159, v1, 4
	v_add_f64 v[0:1], v[9:10], v[29:30]
	v_add_f64 v[9:10], v[17:18], v[33:34]
	v_fma_f64 v[33:34], v[57:58], s[16:17], v[41:42]
	v_add_f64 v[17:18], v[45:46], v[65:66]
	v_fma_f64 v[45:46], v[61:62], s[18:19], v[49:50]
	;; [unrolled: 2-line block ×3, first 2 shown]
	v_add_f64 v[87:88], v[3:4], -v[39:40]
	ds_write_b128 v181, v[81:84]
	ds_write_b128 v181, v[85:88] offset:80
	v_fma_f64 v[33:34], v[43:44], s[8:9], v[33:34]
	v_fma_f64 v[45:46], v[51:52], s[14:15], v[45:46]
	;; [unrolled: 1-line block ×4, first 2 shown]
	v_fma_f64 v[178:179], v[107:108], -0.5, v[119:120]
	v_fma_f64 v[13:14], v[25:26], s[16:17], v[13:14]
	v_add_f64 v[99:100], v[99:100], v[135:136]
	v_add_f64 v[97:98], v[97:98], v[133:134]
	v_add_f64 v[135:136], v[135:136], -v[139:140]
	v_add_f64 v[133:134], v[133:134], -v[137:138]
	v_fma_f64 v[39:40], v[91:92], -0.5, v[95:96]
	v_fma_f64 v[3:4], v[89:90], -0.5, v[93:94]
	;; [unrolled: 1-line block ×4, first 2 shown]
	v_or_b32_e32 v2, 48, v2
	v_fma_f64 v[33:34], v[17:18], s[12:13], v[33:34]
	v_fma_f64 v[45:46], v[29:30], s[12:13], v[45:46]
	;; [unrolled: 1-line block ×3, first 2 shown]
	v_add_f64 v[99:100], v[99:100], v[139:140]
	v_fma_f64 v[139:140], v[103:104], -0.5, v[119:120]
	v_add_f64 v[97:98], v[97:98], v[137:138]
	v_fma_f64 v[137:138], v[101:102], -0.5, v[117:118]
	v_mul_f64 v[53:54], v[33:34], s[20:21]
	v_mul_f64 v[33:34], v[33:34], s[14:15]
	v_add_f64 v[91:92], v[75:76], v[99:100]
	v_add_f64 v[95:96], v[75:76], -v[99:100]
	v_add_f64 v[89:90], v[73:74], v[97:98]
	v_add_f64 v[93:94], v[73:74], -v[97:98]
	v_fma_f64 v[53:54], v[45:46], s[8:9], v[53:54]
	v_fma_f64 v[33:34], v[45:46], s[20:21], v[33:34]
	;; [unrolled: 1-line block ×4, first 2 shown]
	v_add_f64 v[83:84], v[65:66], v[33:34]
	v_fma_f64 v[45:46], v[7:8], s[8:9], v[45:46]
	v_add_f64 v[87:88], v[65:66], -v[33:34]
	v_add_f64 v[33:34], v[55:56], v[71:72]
	v_fma_f64 v[5:6], v[7:8], s[14:15], v[5:6]
	v_fma_f64 v[45:46], v[0:1], s[12:13], v[45:46]
	;; [unrolled: 1-line block ×4, first 2 shown]
	v_add_f64 v[81:82], v[45:46], v[53:54]
	v_add_f64 v[85:86], v[45:46], -v[53:54]
	v_fma_f64 v[45:46], v[43:44], s[18:19], v[59:60]
	v_mul_f64 v[47:48], v[35:36], s[16:17]
	v_fma_f64 v[53:54], v[15:16], s[16:17], v[27:28]
	v_fma_f64 v[27:28], v[15:16], s[18:19], v[27:28]
	;; [unrolled: 1-line block ×11, first 2 shown]
	v_mul_f64 v[45:46], v[45:46], s[18:19]
	v_fma_f64 v[35:36], v[35:36], s[12:13], v[45:46]
	v_fma_f64 v[45:46], v[7:8], s[18:19], v[23:24]
	;; [unrolled: 1-line block ×4, first 2 shown]
	v_add_f64 v[99:100], v[53:54], v[35:36]
	v_fma_f64 v[45:46], v[21:22], s[8:9], v[45:46]
	v_fma_f64 v[23:24], v[21:22], s[14:15], v[23:24]
	;; [unrolled: 1-line block ×4, first 2 shown]
	v_add_f64 v[103:104], v[53:54], -v[35:36]
	v_fma_f64 v[45:46], v[11:12], s[12:13], v[45:46]
	v_fma_f64 v[11:12], v[11:12], s[12:13], v[23:24]
	;; [unrolled: 1-line block ×4, first 2 shown]
	v_add_f64 v[97:98], v[45:46], v[47:48]
	v_add_f64 v[101:102], v[45:46], -v[47:48]
	v_fma_f64 v[23:24], v[57:58], s[14:15], v[23:24]
	v_fma_f64 v[23:24], v[31:32], s[12:13], v[23:24]
	;; [unrolled: 1-line block ×3, first 2 shown]
	v_mul_f64 v[27:28], v[23:24], s[22:23]
	v_fma_f64 v[31:32], v[61:62], s[8:9], v[31:32]
	v_fma_f64 v[31:32], v[33:34], s[12:13], v[31:32]
	;; [unrolled: 1-line block ×3, first 2 shown]
	v_mul_f64 v[31:32], v[31:32], s[22:23]
	v_add_f64 v[105:106], v[11:12], v[27:28]
	v_fma_f64 v[23:24], v[23:24], s[18:19], v[31:32]
	v_add_f64 v[109:110], v[11:12], -v[27:28]
	v_fma_f64 v[11:12], v[57:58], s[18:19], v[41:42]
	v_mad_u64_u32 v[27:28], null, s2, v145, 0
	v_add_f64 v[107:108], v[19:20], v[23:24]
	v_add_f64 v[111:112], v[19:20], -v[23:24]
	v_fma_f64 v[19:20], v[61:62], s[16:17], v[49:50]
	v_fma_f64 v[11:12], v[43:44], s[14:15], v[11:12]
	v_or_b32_e32 v49, 64, v180
	v_mul_lo_u16 v50, 0x67, v49
	v_lshrrev_b16 v71, 10, v50
	v_mul_lo_u16 v50, v71, 10
	v_fma_f64 v[13:14], v[51:52], s[8:9], v[19:20]
	v_fma_f64 v[11:12], v[17:18], s[12:13], v[11:12]
	v_fma_f64 v[17:18], v[149:150], s[18:19], v[39:40]
	v_fma_f64 v[19:20], v[174:175], s[16:17], v[139:140]
	v_sub_nc_u16 v49, v49, v50
	v_and_b32_e32 v72, 0xff, v49
	v_mad_u64_u32 v[49:50], null, v72, 48, s[10:11]
	v_fma_f64 v[7:8], v[29:30], s[12:13], v[13:14]
	v_mul_f64 v[9:10], v[11:12], s[24:25]
	v_fma_f64 v[13:14], v[166:167], s[18:19], v[178:179]
	v_fma_f64 v[17:18], v[153:154], s[14:15], v[17:18]
	;; [unrolled: 1-line block ×4, first 2 shown]
	v_mul_f64 v[7:8], v[7:8], s[24:25]
	v_fma_f64 v[13:14], v[174:175], s[14:15], v[13:14]
	v_add_f64 v[113:114], v[0:1], v[9:10]
	v_fma_f64 v[7:8], v[11:12], s[14:15], v[7:8]
	v_fma_f64 v[11:12], v[160:161], s[16:17], v[176:177]
	v_add_f64 v[117:118], v[0:1], -v[9:10]
	v_add_f64 v[9:10], v[168:169], v[127:128]
	v_add_f64 v[0:1], v[121:122], v[141:142]
	;; [unrolled: 1-line block ×3, first 2 shown]
	v_add_f64 v[119:120], v[5:6], -v[7:8]
	v_add_f64 v[7:8], v[162:163], v[125:126]
	v_fma_f64 v[11:12], v[172:173], s[8:9], v[11:12]
	v_fma_f64 v[13:14], v[9:10], s[12:13], v[13:14]
	v_add_f64 v[5:6], v[123:124], v[155:156]
	ds_write_b128 v181, v[81:84] offset:16
	ds_write_b128 v181, v[97:100] offset:32
	;; [unrolled: 1-line block ×8, first 2 shown]
	v_or_b32_e32 v83, 16, v180
	v_fma_f64 v[11:12], v[7:8], s[12:13], v[11:12]
	v_fma_f64 v[17:18], v[5:6], s[12:13], v[17:18]
	v_mul_f64 v[15:16], v[11:12], s[20:21]
	v_mul_f64 v[11:12], v[11:12], s[14:15]
	v_fma_f64 v[15:16], v[13:14], s[8:9], v[15:16]
	v_fma_f64 v[11:12], v[13:14], s[20:21], v[11:12]
	;; [unrolled: 1-line block ×4, first 2 shown]
	v_add_f64 v[123:124], v[17:18], v[11:12]
	v_fma_f64 v[13:14], v[151:152], s[8:9], v[13:14]
	v_add_f64 v[127:128], v[17:18], -v[11:12]
	v_add_f64 v[17:18], v[170:171], v[135:136]
	v_add_f64 v[11:12], v[129:130], v[143:144]
	v_fma_f64 v[3:4], v[151:152], s[14:15], v[3:4]
	v_fma_f64 v[13:14], v[0:1], s[12:13], v[13:14]
	v_fma_f64 v[19:20], v[17:18], s[12:13], v[19:20]
	v_fma_f64 v[0:1], v[0:1], s[12:13], v[3:4]
	v_add_f64 v[121:122], v[13:14], v[15:16]
	v_add_f64 v[125:126], v[13:14], -v[15:16]
	v_add_f64 v[15:16], v[164:165], v[133:134]
	v_mul_f64 v[23:24], v[19:20], s[16:17]
	v_add_f64 v[13:14], v[131:132], v[157:158]
	v_fma_f64 v[21:22], v[15:16], s[12:13], v[21:22]
	v_fma_f64 v[25:26], v[13:14], s[12:13], v[25:26]
	;; [unrolled: 1-line block ×3, first 2 shown]
	v_mul_f64 v[21:22], v[21:22], s[18:19]
	v_fma_f64 v[19:20], v[19:20], s[12:13], v[21:22]
	v_fma_f64 v[21:22], v[151:152], s[18:19], v[37:38]
	v_add_f64 v[131:132], v[25:26], v[19:20]
	v_add_f64 v[135:136], v[25:26], -v[19:20]
	v_fma_f64 v[19:20], v[172:173], s[16:17], v[137:138]
	v_fma_f64 v[21:22], v[147:148], s[8:9], v[21:22]
	;; [unrolled: 1-line block ×6, first 2 shown]
	v_add_f64 v[133:134], v[21:22], -v[23:24]
	v_add_f64 v[129:130], v[21:22], v[23:24]
	v_fma_f64 v[19:20], v[166:167], s[8:9], v[19:20]
	v_fma_f64 v[17:18], v[17:18], s[12:13], v[19:20]
	;; [unrolled: 1-line block ×8, first 2 shown]
	v_mul_f64 v[19:20], v[15:16], s[22:23]
	v_fma_f64 v[19:20], v[17:18], s[16:17], v[19:20]
	v_mul_f64 v[17:18], v[17:18], s[22:23]
	v_add_f64 v[137:138], v[11:12], v[19:20]
	v_fma_f64 v[15:16], v[15:16], s[18:19], v[17:18]
	v_add_f64 v[141:142], v[11:12], -v[19:20]
	v_fma_f64 v[11:12], v[160:161], s[18:19], v[176:177]
	v_add_f64 v[139:140], v[13:14], v[15:16]
	v_add_f64 v[143:144], v[13:14], -v[15:16]
	v_fma_f64 v[13:14], v[166:167], s[16:17], v[178:179]
	v_fma_f64 v[15:16], v[149:150], s[16:17], v[39:40]
	;; [unrolled: 1-line block ×8, first 2 shown]
	v_mul_f64 v[5:6], v[7:8], s[24:25]
	v_fma_f64 v[5:6], v[9:10], s[8:9], v[5:6]
	v_mul_f64 v[9:10], v[9:10], s[24:25]
	v_add_f64 v[147:148], v[0:1], v[5:6]
	v_fma_f64 v[7:8], v[7:8], s[14:15], v[9:10]
	v_add_f64 v[151:152], v[0:1], -v[5:6]
	v_mul_u32_u24_e32 v0, 10, v83
	v_add_lshl_u32 v182, v159, v0, 4
	v_add_nc_u32_e32 v0, -10, v180
	v_add_f64 v[153:154], v[3:4], -v[7:8]
	v_add_f64 v[149:150], v[3:4], v[7:8]
	v_cndmask_b32_e32 v4, v0, v180, vcc_lo
	ds_write_b128 v182, v[89:92]
	ds_write_b128 v182, v[121:124] offset:16
	ds_write_b128 v182, v[129:132] offset:32
	;; [unrolled: 1-line block ×4, first 2 shown]
	v_mul_i32_i24_e32 v0, 48, v4
	v_mul_hi_i32_i24_e32 v1, 48, v4
	ds_write_b128 v182, v[93:96] offset:80
	ds_write_b128 v182, v[125:128] offset:96
	;; [unrolled: 1-line block ×5, first 2 shown]
	s_waitcnt lgkmcnt(0)
	v_add_co_u32 v81, vcc_lo, s10, v0
	v_add_co_ci_u32_e32 v82, vcc_lo, s11, v1, vcc_lo
	s_barrier
	buffer_gl0_inv
	s_clause 0x1
	global_load_dwordx4 v[121:124], v[81:82], off
	global_load_dwordx4 v[185:188], v[81:82], off offset:16
	ds_read_b128 v[84:87], v204 offset:1280
	ds_read_b128 v[88:91], v204 offset:1024
	v_mul_lo_u16 v3, v83, 26
	v_cmp_lt_u32_e32 vcc_lo, 9, v180
	v_lshrrev_b16 v65, 8, v3
	v_mul_lo_u16 v3, v65, 10
	v_sub_nc_u16 v66, v83, v3
	v_and_b32_e32 v3, 0xff, v66
	v_mad_u64_u32 v[11:12], null, v3, 48, s[10:11]
	s_waitcnt vmcnt(1) lgkmcnt(1)
	v_mul_f64 v[0:1], v[86:87], v[123:124]
	v_mul_f64 v[5:6], v[84:85], v[123:124]
	v_fma_f64 v[0:1], v[84:85], v[121:122], -v[0:1]
	v_fma_f64 v[5:6], v[86:87], v[121:122], v[5:6]
	ds_read_b128 v[84:87], v204 offset:2560
	ds_read_b128 v[92:95], v204 offset:2816
	s_clause 0x1
	global_load_dwordx4 v[197:200], v[81:82], off offset:32
	global_load_dwordx4 v[189:192], v[11:12], off
	s_waitcnt vmcnt(2) lgkmcnt(1)
	v_mul_f64 v[7:8], v[86:87], v[187:188]
	v_mul_f64 v[9:10], v[84:85], v[187:188]
	v_fma_f64 v[7:8], v[84:85], v[185:186], -v[7:8]
	ds_read_b128 v[81:84], v204 offset:3840
	ds_read_b128 v[96:99], v204 offset:3584
	v_fma_f64 v[9:10], v[86:87], v[185:186], v[9:10]
	s_waitcnt vmcnt(1) lgkmcnt(1)
	v_mul_f64 v[13:14], v[83:84], v[199:200]
	v_mul_f64 v[15:16], v[81:82], v[199:200]
	v_fma_f64 v[13:14], v[81:82], v[197:198], -v[13:14]
	v_fma_f64 v[15:16], v[83:84], v[197:198], v[15:16]
	ds_read_b128 v[81:84], v204 offset:1536
	ds_read_b128 v[100:103], v204 offset:1792
	s_clause 0x1
	global_load_dwordx4 v[248:251], v[11:12], off offset:16
	global_load_dwordx4 v[193:196], v[11:12], off offset:32
	s_waitcnt vmcnt(2) lgkmcnt(1)
	v_mul_f64 v[17:18], v[83:84], v[191:192]
	v_mul_f64 v[19:20], v[81:82], v[191:192]
	v_add_f64 v[15:16], v[5:6], -v[15:16]
	v_add_f64 v[13:14], v[0:1], -v[13:14]
	v_fma_f64 v[17:18], v[81:82], v[189:190], -v[17:18]
	v_fma_f64 v[19:20], v[83:84], v[189:190], v[19:20]
	v_fma_f64 v[0:1], v[0:1], 2.0, -v[13:14]
	s_waitcnt vmcnt(1)
	v_mul_f64 v[11:12], v[94:95], v[250:251]
	v_mul_f64 v[21:22], v[92:93], v[250:251]
	v_fma_f64 v[11:12], v[92:93], v[248:249], -v[11:12]
	v_fma_f64 v[21:22], v[94:95], v[248:249], v[21:22]
	ds_read_b128 v[81:84], v204 offset:4096
	ds_read_b128 v[92:95], v204 offset:4352
	buffer_store_dword v27, off, s[28:31], 0 offset:328 ; 4-byte Folded Spill
	buffer_store_dword v28, off, s[28:31], 0 offset:332 ; 4-byte Folded Spill
	s_waitcnt vmcnt(0) lgkmcnt(1)
	v_mul_f64 v[23:24], v[83:84], v[195:196]
	v_mul_f64 v[25:26], v[81:82], v[195:196]
	v_fma_f64 v[23:24], v[81:82], v[193:194], -v[23:24]
	v_fma_f64 v[25:26], v[83:84], v[193:194], v[25:26]
	v_mov_b32_e32 v3, v28
	v_mad_u64_u32 v[27:28], null, s3, v145, v[3:4]
	v_or_b32_e32 v145, 32, v180
	buffer_store_dword v27, off, s[28:31], 0 offset:320 ; 4-byte Folded Spill
	buffer_store_dword v28, off, s[28:31], 0 offset:324 ; 4-byte Folded Spill
	v_mul_lo_u16 v3, v145, 26
	v_lshrrev_b16 v67, 8, v3
	v_mul_lo_u16 v3, v67, 10
	v_sub_nc_u16 v3, v145, v3
	v_and_b32_e32 v68, 0xff, v3
	v_mul_lo_u16 v3, v2, 26
	v_mad_u64_u32 v[27:28], null, v68, 48, s[10:11]
	s_clause 0x1
	global_load_dwordx4 v[209:212], v[27:28], off
	global_load_dwordx4 v[205:208], v[27:28], off offset:16
	v_lshrrev_b16 v69, 8, v3
	v_mul_lo_u16 v3, v69, 10
	v_sub_nc_u16 v2, v2, v3
	v_and_b32_e32 v70, 0xff, v2
	v_mad_u64_u32 v[2:3], null, v70, 48, s[10:11]
	s_waitcnt vmcnt(1)
	v_mul_f64 v[29:30], v[102:103], v[211:212]
	v_mul_f64 v[31:32], v[100:101], v[211:212]
	v_fma_f64 v[29:30], v[100:101], v[209:210], -v[29:30]
	v_fma_f64 v[31:32], v[102:103], v[209:210], v[31:32]
	ds_read_b128 v[81:84], v204 offset:3072
	ds_read_b128 v[100:103], v204 offset:3328
	s_clause 0x1
	global_load_dwordx4 v[221:224], v[27:28], off offset:32
	global_load_dwordx4 v[213:216], v[2:3], off
	s_waitcnt vmcnt(2) lgkmcnt(1)
	v_mul_f64 v[33:34], v[83:84], v[207:208]
	v_mul_f64 v[35:36], v[81:82], v[207:208]
	v_fma_f64 v[33:34], v[81:82], v[205:206], -v[33:34]
	v_fma_f64 v[35:36], v[83:84], v[205:206], v[35:36]
	s_waitcnt vmcnt(1)
	v_mul_f64 v[27:28], v[94:95], v[223:224]
	v_mul_f64 v[37:38], v[92:93], v[223:224]
	v_fma_f64 v[27:28], v[92:93], v[221:222], -v[27:28]
	v_fma_f64 v[37:38], v[94:95], v[221:222], v[37:38]
	ds_read_b128 v[81:84], v204 offset:2048
	ds_read_b128 v[92:95], v204 offset:2304
	s_clause 0x1
	global_load_dwordx4 v[225:228], v[2:3], off offset:16
	global_load_dwordx4 v[217:220], v[2:3], off offset:32
	s_waitcnt vmcnt(2) lgkmcnt(1)
	v_mul_f64 v[39:40], v[83:84], v[215:216]
	v_mul_f64 v[41:42], v[81:82], v[215:216]
	v_fma_f64 v[39:40], v[81:82], v[213:214], -v[39:40]
	v_fma_f64 v[41:42], v[83:84], v[213:214], v[41:42]
	s_waitcnt vmcnt(1)
	v_mul_f64 v[2:3], v[102:103], v[227:228]
	v_mul_f64 v[43:44], v[100:101], v[227:228]
	v_fma_f64 v[2:3], v[100:101], v[225:226], -v[2:3]
	v_fma_f64 v[43:44], v[102:103], v[225:226], v[43:44]
	ds_read_b128 v[81:84], v204 offset:4608
	ds_read_b128 v[100:103], v204 offset:4864
	s_clause 0x2
	global_load_dwordx4 v[233:236], v[49:50], off
	global_load_dwordx4 v[229:232], v[49:50], off offset:16
	global_load_dwordx4 v[237:240], v[49:50], off offset:32
	s_waitcnt vmcnt(3) lgkmcnt(1)
	v_mul_f64 v[45:46], v[83:84], v[219:220]
	v_mul_f64 v[47:48], v[81:82], v[219:220]
	v_fma_f64 v[45:46], v[81:82], v[217:218], -v[45:46]
	v_fma_f64 v[47:48], v[83:84], v[217:218], v[47:48]
	s_waitcnt vmcnt(2)
	v_mul_f64 v[51:52], v[94:95], v[235:236]
	v_mul_f64 v[53:54], v[92:93], v[235:236]
	s_waitcnt vmcnt(1)
	v_mul_f64 v[55:56], v[98:99], v[231:232]
	v_mul_f64 v[57:58], v[96:97], v[231:232]
	s_waitcnt vmcnt(0) lgkmcnt(0)
	v_mul_f64 v[49:50], v[102:103], v[239:240]
	v_mul_f64 v[59:60], v[100:101], v[239:240]
	v_fma_f64 v[51:52], v[92:93], v[233:234], -v[51:52]
	v_fma_f64 v[53:54], v[94:95], v[233:234], v[53:54]
	ds_read_b128 v[81:84], v204
	ds_read_b128 v[92:95], v204 offset:256
	v_fma_f64 v[55:56], v[96:97], v[229:230], -v[55:56]
	v_fma_f64 v[57:58], v[98:99], v[229:230], v[57:58]
	v_fma_f64 v[49:50], v[100:101], v[237:238], -v[49:50]
	v_fma_f64 v[59:60], v[102:103], v[237:238], v[59:60]
	ds_read_b128 v[100:103], v204 offset:512
	ds_read_b128 v[104:107], v204 offset:768
	s_waitcnt lgkmcnt(0)
	s_waitcnt_vscnt null, 0x0
	s_barrier
	buffer_gl0_inv
	v_add_f64 v[7:8], v[81:82], -v[7:8]
	v_add_f64 v[9:10], v[83:84], -v[9:10]
	v_fma_f64 v[61:62], v[81:82], 2.0, -v[7:8]
	v_add_f64 v[81:82], v[7:8], -v[15:16]
	v_fma_f64 v[63:64], v[83:84], 2.0, -v[9:10]
	v_add_f64 v[83:84], v[9:10], v[13:14]
	v_fma_f64 v[96:97], v[7:8], 2.0, -v[81:82]
	v_cndmask_b32_e64 v7, 0, 40, vcc_lo
	v_fma_f64 v[98:99], v[9:10], 2.0, -v[83:84]
	v_cmp_gt_u64_e32 vcc_lo, 40, v[145:146]
	v_add_nc_u32_e32 v4, v4, v7
	v_add_lshl_u32 v245, v159, v4, 4
	v_fma_f64 v[4:5], v[5:6], 2.0, -v[15:16]
	ds_write_b128 v245, v[81:84] offset:480
	ds_write_b128 v245, v[96:99] offset:160
	v_add_f64 v[81:82], v[61:62], -v[0:1]
	v_add_f64 v[0:1], v[92:93], -v[11:12]
	;; [unrolled: 1-line block ×4, first 2 shown]
	v_add_nc_u32_e32 v26, -8, v180
	v_add_f64 v[83:84], v[63:64], -v[4:5]
	v_add_f64 v[4:5], v[94:95], -v[21:22]
	v_fma_f64 v[96:97], v[61:62], 2.0, -v[81:82]
	v_fma_f64 v[6:7], v[92:93], 2.0, -v[0:1]
	;; [unrolled: 1-line block ×6, first 2 shown]
	ds_write_b128 v245, v[81:84] offset:320
	ds_write_b128 v245, v[96:99]
	v_add_f64 v[81:82], v[6:7], -v[14:15]
	v_add_f64 v[83:84], v[8:9], -v[16:17]
	v_fma_f64 v[92:93], v[6:7], 2.0, -v[81:82]
	v_fma_f64 v[94:95], v[8:9], 2.0, -v[83:84]
	v_mad_u16 v6, v65, 40, v66
	v_and_b32_e32 v6, 0xff, v6
	v_add_lshl_u32 v6, v159, v6, 4
	buffer_store_dword v6, off, s[28:31], 0 offset:480 ; 4-byte Folded Spill
	ds_write_b128 v6, v[92:95]
	v_add_f64 v[92:93], v[0:1], -v[12:13]
	v_add_f64 v[94:95], v[4:5], v[10:11]
	v_add_f64 v[10:11], v[29:30], -v[27:28]
	v_add_f64 v[12:13], v[31:32], -v[37:38]
	v_fma_f64 v[96:97], v[0:1], 2.0, -v[92:93]
	v_fma_f64 v[98:99], v[4:5], 2.0, -v[94:95]
	v_add_f64 v[0:1], v[100:101], -v[33:34]
	v_add_f64 v[4:5], v[102:103], -v[35:36]
	ds_write_b128 v6, v[96:99] offset:160
	ds_write_b128 v6, v[81:84] offset:320
	;; [unrolled: 1-line block ×3, first 2 shown]
	v_fma_f64 v[6:7], v[100:101], 2.0, -v[0:1]
	v_fma_f64 v[8:9], v[102:103], 2.0, -v[4:5]
	v_fma_f64 v[14:15], v[29:30], 2.0, -v[10:11]
	v_fma_f64 v[16:17], v[31:32], 2.0, -v[12:13]
	v_add_f64 v[81:82], v[6:7], -v[14:15]
	v_add_f64 v[83:84], v[8:9], -v[16:17]
	v_mov_b32_e32 v16, 40
	v_fma_f64 v[92:93], v[6:7], 2.0, -v[81:82]
	v_fma_f64 v[94:95], v[8:9], 2.0, -v[83:84]
	v_mul_u32_u24_sdwa v6, v67, v16 dst_sel:DWORD dst_unused:UNUSED_PAD src0_sel:WORD_0 src1_sel:DWORD
	v_add_f64 v[8:9], v[39:40], -v[45:46]
	v_add_nc_u32_e32 v6, v6, v68
	v_add_lshl_u32 v6, v159, v6, 4
	buffer_store_dword v6, off, s[28:31], 0 offset:340 ; 4-byte Folded Spill
	ds_write_b128 v6, v[92:95]
	v_add_f64 v[92:93], v[0:1], -v[12:13]
	v_add_f64 v[94:95], v[4:5], v[10:11]
	v_add_f64 v[10:11], v[41:42], -v[47:48]
	v_fma_f64 v[12:13], v[39:40], 2.0, -v[8:9]
	v_fma_f64 v[96:97], v[0:1], 2.0, -v[92:93]
	v_fma_f64 v[98:99], v[4:5], 2.0, -v[94:95]
	v_add_f64 v[0:1], v[104:105], -v[2:3]
	v_add_f64 v[2:3], v[106:107], -v[43:44]
	ds_write_b128 v6, v[96:99] offset:160
	ds_write_b128 v6, v[81:84] offset:320
	;; [unrolled: 1-line block ×3, first 2 shown]
	v_fma_f64 v[4:5], v[104:105], 2.0, -v[0:1]
	v_fma_f64 v[6:7], v[106:107], 2.0, -v[2:3]
	;; [unrolled: 1-line block ×3, first 2 shown]
	v_add_f64 v[81:82], v[4:5], -v[12:13]
	v_add_f64 v[83:84], v[6:7], -v[14:15]
	v_fma_f64 v[92:93], v[4:5], 2.0, -v[81:82]
	v_mul_u32_u24_sdwa v4, v69, v16 dst_sel:DWORD dst_unused:UNUSED_PAD src0_sel:WORD_0 src1_sel:DWORD
	v_fma_f64 v[94:95], v[6:7], 2.0, -v[83:84]
	v_add_nc_u32_e32 v4, v4, v70
	v_add_lshl_u32 v4, v159, v4, 4
	buffer_store_dword v4, off, s[28:31], 0 offset:344 ; 4-byte Folded Spill
	ds_write_b128 v4, v[92:95]
	v_add_f64 v[92:93], v[0:1], -v[10:11]
	v_add_f64 v[94:95], v[2:3], v[8:9]
	v_add_f64 v[8:9], v[51:52], -v[49:50]
	v_add_f64 v[10:11], v[53:54], -v[59:60]
	v_fma_f64 v[96:97], v[0:1], 2.0, -v[92:93]
	v_fma_f64 v[98:99], v[2:3], 2.0, -v[94:95]
	v_add_f64 v[0:1], v[88:89], -v[55:56]
	v_add_f64 v[2:3], v[90:91], -v[57:58]
	ds_write_b128 v4, v[96:99] offset:160
	ds_write_b128 v4, v[81:84] offset:320
	;; [unrolled: 1-line block ×3, first 2 shown]
	v_fma_f64 v[4:5], v[88:89], 2.0, -v[0:1]
	v_fma_f64 v[6:7], v[90:91], 2.0, -v[2:3]
	;; [unrolled: 1-line block ×4, first 2 shown]
	v_cndmask_b32_e32 v52, v26, v145, vcc_lo
	v_mul_i32_i24_e32 v26, 48, v52
	v_mul_hi_i32_i24_e32 v27, 48, v52
	v_add_co_u32 v26, vcc_lo, s10, v26
	v_add_co_ci_u32_e32 v27, vcc_lo, s11, v27, vcc_lo
	v_cmp_lt_u64_e32 vcc_lo, 39, v[145:146]
	v_add_f64 v[81:82], v[4:5], -v[12:13]
	v_add_f64 v[83:84], v[6:7], -v[14:15]
	v_fma_f64 v[85:86], v[4:5], 2.0, -v[81:82]
	v_fma_f64 v[87:88], v[6:7], 2.0, -v[83:84]
	v_mul_u32_u24_sdwa v4, v71, v16 dst_sel:DWORD dst_unused:UNUSED_PAD src0_sel:WORD_0 src1_sel:DWORD
	v_add_nc_u32_e32 v4, v4, v72
	v_add_lshl_u32 v4, v159, v4, 4
	buffer_store_dword v4, off, s[28:31], 0 offset:348 ; 4-byte Folded Spill
	ds_write_b128 v4, v[85:88]
	v_add_f64 v[85:86], v[0:1], -v[10:11]
	v_add_f64 v[87:88], v[2:3], v[8:9]
	v_fma_f64 v[89:90], v[0:1], 2.0, -v[85:86]
	v_fma_f64 v[91:92], v[2:3], 2.0, -v[87:88]
	v_mad_u64_u32 v[0:1], null, v180, 48, s[10:11]
	ds_write_b128 v4, v[89:92] offset:160
	ds_write_b128 v4, v[81:84] offset:320
	;; [unrolled: 1-line block ×3, first 2 shown]
	s_waitcnt lgkmcnt(0)
	s_waitcnt_vscnt null, 0x0
	s_barrier
	buffer_gl0_inv
	buffer_store_dword v180, off, s[28:31], 0 offset:336 ; 4-byte Folded Spill
	s_clause 0x1
	global_load_dwordx4 v[6:9], v[0:1], off offset:480
	global_load_dwordx4 v[10:13], v[0:1], off offset:496
	ds_read_b128 v[89:92], v204 offset:1280
	ds_read_b128 v[141:144], v204 offset:1024
	s_waitcnt vmcnt(1)
	buffer_store_dword v6, off, s[28:31], 0 offset:352 ; 4-byte Folded Spill
	buffer_store_dword v7, off, s[28:31], 0 offset:356 ; 4-byte Folded Spill
	;; [unrolled: 1-line block ×4, first 2 shown]
	s_waitcnt lgkmcnt(1)
	v_mul_f64 v[2:3], v[91:92], v[8:9]
	v_mul_f64 v[4:5], v[89:90], v[8:9]
	v_fma_f64 v[2:3], v[89:90], v[6:7], -v[2:3]
	v_fma_f64 v[4:5], v[91:92], v[6:7], v[4:5]
	ds_read_b128 v[89:92], v204 offset:2560
	ds_read_b128 v[93:96], v204 offset:2816
	s_waitcnt vmcnt(0)
	buffer_store_dword v10, off, s[28:31], 0 offset:368 ; 4-byte Folded Spill
	buffer_store_dword v11, off, s[28:31], 0 offset:372 ; 4-byte Folded Spill
	;; [unrolled: 1-line block ×4, first 2 shown]
	global_load_dwordx4 v[14:17], v[0:1], off offset:512
	s_waitcnt vmcnt(0)
	buffer_store_dword v14, off, s[28:31], 0 offset:384 ; 4-byte Folded Spill
	buffer_store_dword v15, off, s[28:31], 0 offset:388 ; 4-byte Folded Spill
	;; [unrolled: 1-line block ×4, first 2 shown]
	ds_read_b128 v[97:100], v204 offset:3840
	ds_read_b128 v[153:156], v204 offset:3584
	s_clause 0x2
	global_load_dwordx4 v[42:45], v[0:1], off offset:864
	global_load_dwordx4 v[252:255], v[0:1], off offset:1248
	;; [unrolled: 1-line block ×3, first 2 shown]
	s_waitcnt lgkmcnt(3)
	v_mul_f64 v[6:7], v[91:92], v[12:13]
	v_mul_f64 v[8:9], v[89:90], v[12:13]
	ds_read_b128 v[109:112], v204 offset:1536
	ds_read_b128 v[117:120], v204 offset:1792
	s_waitcnt vmcnt(0)
	buffer_store_dword v22, off, s[28:31], 0 offset:400 ; 4-byte Folded Spill
	buffer_store_dword v23, off, s[28:31], 0 offset:404 ; 4-byte Folded Spill
	;; [unrolled: 1-line block ×4, first 2 shown]
	v_fma_f64 v[6:7], v[89:90], v[10:11], -v[6:7]
	v_fma_f64 v[8:9], v[91:92], v[10:11], v[8:9]
	s_waitcnt lgkmcnt(3)
	v_mul_f64 v[10:11], v[99:100], v[16:17]
	v_mul_f64 v[12:13], v[97:98], v[16:17]
	s_waitcnt lgkmcnt(1)
	v_mul_f64 v[16:17], v[109:110], v[254:255]
	v_fma_f64 v[10:11], v[97:98], v[14:15], -v[10:11]
	v_fma_f64 v[12:13], v[99:100], v[14:15], v[12:13]
	v_mul_f64 v[14:15], v[111:112], v[254:255]
	v_fma_f64 v[16:17], v[111:112], v[252:253], v[16:17]
	v_add_f64 v[10:11], v[2:3], -v[10:11]
	v_add_f64 v[12:13], v[4:5], -v[12:13]
	v_fma_f64 v[14:15], v[109:110], v[252:253], -v[14:15]
	global_load_dwordx4 v[109:112], v[0:1], off offset:1280
	ds_read_b128 v[113:116], v204 offset:4096
	ds_read_b128 v[129:132], v204 offset:4352
	global_load_dwordx4 v[53:56], v[0:1], off offset:1632
	v_mul_f64 v[18:19], v[95:96], v[24:25]
	v_mul_f64 v[20:21], v[93:94], v[24:25]
	v_fma_f64 v[18:19], v[93:94], v[22:23], -v[18:19]
	v_fma_f64 v[20:21], v[95:96], v[22:23], v[20:21]
	s_waitcnt vmcnt(1) lgkmcnt(1)
	v_mul_f64 v[22:23], v[115:116], v[111:112]
	v_mul_f64 v[24:25], v[113:114], v[111:112]
	v_fma_f64 v[22:23], v[113:114], v[109:110], -v[22:23]
	v_fma_f64 v[24:25], v[115:116], v[109:110], v[24:25]
	s_clause 0x1
	global_load_dwordx4 v[105:108], v[26:27], off offset:480
	global_load_dwordx4 v[113:116], v[26:27], off offset:496
	v_add_f64 v[22:23], v[14:15], -v[22:23]
	v_add_f64 v[24:25], v[16:17], -v[24:25]
	s_waitcnt vmcnt(1)
	v_mul_f64 v[28:29], v[119:120], v[107:108]
	v_mul_f64 v[30:31], v[117:118], v[107:108]
	v_fma_f64 v[28:29], v[117:118], v[105:106], -v[28:29]
	v_fma_f64 v[30:31], v[119:120], v[105:106], v[30:31]
	ds_read_b128 v[117:120], v204 offset:3072
	ds_read_b128 v[137:140], v204 offset:3328
	global_load_dwordx4 v[125:128], v[26:27], off offset:512
	s_waitcnt vmcnt(1) lgkmcnt(1)
	v_mul_f64 v[32:33], v[119:120], v[115:116]
	v_mul_f64 v[34:35], v[117:118], v[115:116]
	v_fma_f64 v[32:33], v[117:118], v[113:114], -v[32:33]
	v_fma_f64 v[34:35], v[119:120], v[113:114], v[34:35]
	s_waitcnt vmcnt(0)
	v_mul_f64 v[26:27], v[131:132], v[127:128]
	v_mul_f64 v[36:37], v[129:130], v[127:128]
	v_fma_f64 v[26:27], v[129:130], v[125:126], -v[26:27]
	v_fma_f64 v[36:37], v[131:132], v[125:126], v[36:37]
	ds_read_b128 v[117:120], v204 offset:2048
	ds_read_b128 v[129:132], v204 offset:2304
	buffer_store_dword v42, off, s[28:31], 0 offset:416 ; 4-byte Folded Spill
	buffer_store_dword v43, off, s[28:31], 0 offset:420 ; 4-byte Folded Spill
	;; [unrolled: 1-line block ×4, first 2 shown]
	s_waitcnt lgkmcnt(1)
	v_mul_f64 v[38:39], v[119:120], v[44:45]
	v_mul_f64 v[40:41], v[117:118], v[44:45]
	v_fma_f64 v[38:39], v[117:118], v[42:43], -v[38:39]
	v_fma_f64 v[40:41], v[119:120], v[42:43], v[40:41]
	s_clause 0x1
	global_load_dwordx4 v[133:136], v[0:1], off offset:880
	global_load_dwordx4 v[117:120], v[0:1], off offset:896
	s_waitcnt vmcnt(1)
	v_mul_f64 v[42:43], v[139:140], v[135:136]
	v_mul_f64 v[44:45], v[137:138], v[135:136]
	v_fma_f64 v[42:43], v[137:138], v[133:134], -v[42:43]
	v_fma_f64 v[44:45], v[139:140], v[133:134], v[44:45]
	ds_read_b128 v[137:140], v204 offset:4608
	ds_read_b128 v[160:163], v204 offset:4864
	buffer_store_dword v53, off, s[28:31], 0 offset:432 ; 4-byte Folded Spill
	buffer_store_dword v54, off, s[28:31], 0 offset:436 ; 4-byte Folded Spill
	;; [unrolled: 1-line block ×4, first 2 shown]
	s_waitcnt vmcnt(0) lgkmcnt(1)
	v_mul_f64 v[46:47], v[139:140], v[119:120]
	v_mul_f64 v[48:49], v[137:138], v[119:120]
	v_fma_f64 v[46:47], v[137:138], v[117:118], -v[46:47]
	v_fma_f64 v[48:49], v[139:140], v[117:118], v[48:49]
	v_mul_f64 v[50:51], v[131:132], v[55:56]
	v_fma_f64 v[147:148], v[129:130], v[53:54], -v[50:51]
	v_mul_f64 v[50:51], v[129:130], v[55:56]
	v_fma_f64 v[149:150], v[131:132], v[53:54], v[50:51]
	s_clause 0x1
	global_load_dwordx4 v[137:140], v[0:1], off offset:1648
	global_load_dwordx4 v[129:132], v[0:1], off offset:1664
	s_waitcnt vmcnt(1)
	v_mul_f64 v[0:1], v[155:156], v[139:140]
	v_fma_f64 v[151:152], v[153:154], v[137:138], -v[0:1]
	v_mul_f64 v[0:1], v[153:154], v[139:140]
	v_fma_f64 v[155:156], v[155:156], v[137:138], v[0:1]
	s_waitcnt vmcnt(0) lgkmcnt(0)
	v_mul_f64 v[0:1], v[162:163], v[131:132]
	v_fma_f64 v[153:154], v[160:161], v[129:130], -v[0:1]
	v_mul_f64 v[0:1], v[160:161], v[131:132]
	v_fma_f64 v[157:158], v[162:163], v[129:130], v[0:1]
	ds_read_b128 v[160:163], v204
	ds_read_b128 v[164:167], v204 offset:256
	ds_read_b128 v[172:175], v204 offset:512
	;; [unrolled: 1-line block ×3, first 2 shown]
	s_waitcnt lgkmcnt(0)
	s_waitcnt_vscnt null, 0x0
	s_barrier
	buffer_gl0_inv
	v_add_f64 v[0:1], v[160:161], -v[6:7]
	v_add_f64 v[6:7], v[162:163], -v[8:9]
	v_fma_f64 v[8:9], v[160:161], 2.0, -v[0:1]
	v_add_f64 v[160:161], v[0:1], -v[12:13]
	v_fma_f64 v[50:51], v[162:163], 2.0, -v[6:7]
	v_add_f64 v[162:163], v[6:7], v[10:11]
	v_fma_f64 v[168:169], v[0:1], 2.0, -v[160:161]
	v_add_f64 v[0:1], v[164:165], -v[18:19]
	v_fma_f64 v[170:171], v[6:7], 2.0, -v[162:163]
	ds_write_b128 v204, v[160:163] offset:1920
	v_add_f64 v[6:7], v[166:167], -v[20:21]
	v_add_f64 v[160:161], v[0:1], -v[24:25]
	v_fma_f64 v[18:19], v[164:165], 2.0, -v[0:1]
	v_add_f64 v[162:163], v[6:7], v[22:23]
	v_fma_f64 v[20:21], v[166:167], 2.0, -v[6:7]
	ds_write_b128 v204, v[160:163] offset:2176
	ds_write_b128 v204, v[168:171] offset:640
	v_fma_f64 v[164:165], v[0:1], 2.0, -v[160:161]
	v_fma_f64 v[0:1], v[2:3], 2.0, -v[10:11]
	;; [unrolled: 1-line block ×4, first 2 shown]
	v_add_f64 v[10:11], v[30:31], -v[36:37]
	v_add_f64 v[160:161], v[8:9], -v[0:1]
	;; [unrolled: 1-line block ×3, first 2 shown]
	v_fma_f64 v[0:1], v[14:15], 2.0, -v[22:23]
	v_fma_f64 v[2:3], v[16:17], 2.0, -v[24:25]
	ds_write_b128 v204, v[160:163] offset:1280
	ds_write_b128 v204, v[164:167] offset:896
	v_fma_f64 v[168:169], v[8:9], 2.0, -v[160:161]
	v_fma_f64 v[170:171], v[50:51], 2.0, -v[162:163]
	v_add_f64 v[160:161], v[18:19], -v[0:1]
	v_add_f64 v[162:163], v[20:21], -v[2:3]
	;; [unrolled: 1-line block ×5, first 2 shown]
	v_fma_f64 v[14:15], v[30:31], 2.0, -v[10:11]
	v_fma_f64 v[164:165], v[18:19], 2.0, -v[160:161]
	;; [unrolled: 1-line block ×6, first 2 shown]
	ds_write_b128 v204, v[160:163] offset:1536
	ds_write_b128 v204, v[168:171]
	ds_write_b128 v204, v[164:167] offset:256
	v_add_f64 v[162:163], v[6:7], -v[14:15]
	v_add_f64 v[160:161], v[4:5], -v[12:13]
	v_fma_f64 v[166:167], v[6:7], 2.0, -v[162:163]
	v_fma_f64 v[164:165], v[4:5], 2.0, -v[160:161]
	v_cndmask_b32_e64 v4, 0, 0xa0, vcc_lo
	v_add_nc_u32_e32 v4, v4, v52
	v_add_lshl_u32 v4, v159, v4, 4
	buffer_store_dword v4, off, s[28:31], 0 offset:448 ; 4-byte Folded Spill
	ds_write_b128 v4, v[164:167]
	v_add_f64 v[164:165], v[0:1], -v[10:11]
	v_add_f64 v[166:167], v[2:3], v[8:9]
	v_add_f64 v[8:9], v[38:39], -v[46:47]
	v_add_f64 v[10:11], v[40:41], -v[48:49]
	v_fma_f64 v[168:169], v[0:1], 2.0, -v[164:165]
	v_fma_f64 v[170:171], v[2:3], 2.0, -v[166:167]
	v_add_f64 v[0:1], v[176:177], -v[42:43]
	v_add_f64 v[2:3], v[178:179], -v[44:45]
	v_fma_f64 v[12:13], v[38:39], 2.0, -v[8:9]
	v_fma_f64 v[14:15], v[40:41], 2.0, -v[10:11]
	ds_write_b128 v4, v[168:171] offset:640
	ds_write_b128 v4, v[160:163] offset:1280
	;; [unrolled: 1-line block ×3, first 2 shown]
	v_fma_f64 v[4:5], v[176:177], 2.0, -v[0:1]
	v_fma_f64 v[6:7], v[178:179], 2.0, -v[2:3]
	v_add_f64 v[159:160], v[4:5], -v[12:13]
	v_add_f64 v[161:162], v[6:7], -v[14:15]
	v_fma_f64 v[163:164], v[4:5], 2.0, -v[159:160]
	v_fma_f64 v[165:166], v[6:7], 2.0, -v[161:162]
	ds_write_b128 v204, v[163:166] offset:2688
	v_add_f64 v[163:164], v[0:1], -v[10:11]
	v_add_f64 v[165:166], v[2:3], v[8:9]
	v_add_f64 v[8:9], v[147:148], -v[153:154]
	v_add_f64 v[10:11], v[149:150], -v[157:158]
	v_fma_f64 v[167:168], v[0:1], 2.0, -v[163:164]
	v_fma_f64 v[169:170], v[2:3], 2.0, -v[165:166]
	v_add_f64 v[0:1], v[141:142], -v[151:152]
	v_add_f64 v[2:3], v[143:144], -v[155:156]
	v_fma_f64 v[12:13], v[147:148], 2.0, -v[8:9]
	v_fma_f64 v[14:15], v[149:150], 2.0, -v[10:11]
	ds_write_b128 v204, v[167:170] offset:3328
	ds_write_b128 v204, v[159:162] offset:3968
	;; [unrolled: 1-line block ×3, first 2 shown]
	v_fma_f64 v[4:5], v[141:142], 2.0, -v[0:1]
	v_fma_f64 v[6:7], v[143:144], 2.0, -v[2:3]
	v_add_f64 v[141:142], v[4:5], -v[12:13]
	v_add_f64 v[143:144], v[6:7], -v[14:15]
	v_add_co_u32 v12, s2, s10, v201
	v_add_co_ci_u32_e64 v13, null, s11, 0, s2
	s_load_dwordx2 s[2:3], s[4:5], 0x38
	v_fma_f64 v[145:146], v[4:5], 2.0, -v[141:142]
	v_fma_f64 v[147:148], v[6:7], 2.0, -v[143:144]
	ds_write_b128 v204, v[145:148] offset:2944
	v_add_f64 v[145:146], v[0:1], -v[10:11]
	v_add_f64 v[147:148], v[2:3], v[8:9]
	v_fma_f64 v[149:150], v[0:1], 2.0, -v[145:146]
	v_fma_f64 v[151:152], v[2:3], 2.0, -v[147:148]
	v_add_co_u32 v0, vcc_lo, 0x800, v12
	v_add_co_ci_u32_e32 v1, vcc_lo, 0, v13, vcc_lo
	ds_write_b128 v204, v[149:152] offset:3584
	ds_write_b128 v204, v[141:144] offset:4224
	ds_write_b128 v204, v[145:148] offset:4864
	s_waitcnt lgkmcnt(0)
	s_waitcnt_vscnt null, 0x0
	s_barrier
	buffer_gl0_inv
	s_clause 0x1
	global_load_dwordx4 v[141:144], v[0:1], off offset:352
	global_load_dwordx4 v[145:148], v[0:1], off offset:608
	ds_read_b128 v[149:152], v204 offset:2560
	ds_read_b128 v[153:156], v204 offset:2816
	s_waitcnt vmcnt(1) lgkmcnt(1)
	v_mul_f64 v[2:3], v[151:152], v[143:144]
	v_fma_f64 v[4:5], v[149:150], v[141:142], -v[2:3]
	v_mul_f64 v[2:3], v[149:150], v[143:144]
	v_fma_f64 v[6:7], v[151:152], v[141:142], v[2:3]
	s_waitcnt vmcnt(0) lgkmcnt(0)
	v_mul_f64 v[2:3], v[155:156], v[147:148]
	v_fma_f64 v[8:9], v[153:154], v[145:146], -v[2:3]
	v_mul_f64 v[2:3], v[153:154], v[147:148]
	v_fma_f64 v[10:11], v[155:156], v[145:146], v[2:3]
	s_clause 0x1
	global_load_dwordx4 v[149:152], v[0:1], off offset:864
	global_load_dwordx4 v[153:156], v[0:1], off offset:1120
	ds_read_b128 v[157:160], v204 offset:3072
	ds_read_b128 v[161:164], v204 offset:3328
	s_waitcnt vmcnt(1) lgkmcnt(1)
	v_mul_f64 v[2:3], v[159:160], v[151:152]
	v_fma_f64 v[20:21], v[157:158], v[149:150], -v[2:3]
	v_mul_f64 v[2:3], v[157:158], v[151:152]
	v_fma_f64 v[22:23], v[159:160], v[149:150], v[2:3]
	s_waitcnt vmcnt(0) lgkmcnt(0)
	v_mul_f64 v[2:3], v[163:164], v[155:156]
	v_fma_f64 v[24:25], v[161:162], v[153:154], -v[2:3]
	v_mul_f64 v[2:3], v[161:162], v[155:156]
	v_fma_f64 v[26:27], v[163:164], v[153:154], v[2:3]
	;; [unrolled: 15-line block ×3, first 2 shown]
	v_add_co_u32 v2, vcc_lo, 0x1000, v12
	v_add_co_ci_u32_e32 v3, vcc_lo, 0, v13, vcc_lo
	s_clause 0x1
	global_load_dwordx4 v[169:172], v[0:1], off offset:1888
	global_load_dwordx4 v[165:168], v[2:3], off offset:96
	ds_read_b128 v[173:176], v204 offset:4096
	ds_read_b128 v[177:180], v204 offset:4352
	s_waitcnt vmcnt(1) lgkmcnt(1)
	v_mul_f64 v[0:1], v[175:176], v[171:172]
	v_fma_f64 v[52:53], v[173:174], v[169:170], -v[0:1]
	v_mul_f64 v[0:1], v[173:174], v[171:172]
	v_fma_f64 v[54:55], v[175:176], v[169:170], v[0:1]
	s_waitcnt vmcnt(0) lgkmcnt(0)
	v_mul_f64 v[0:1], v[179:180], v[167:168]
	v_fma_f64 v[56:57], v[177:178], v[165:166], -v[0:1]
	v_mul_f64 v[0:1], v[177:178], v[167:168]
	v_fma_f64 v[58:59], v[179:180], v[165:166], v[0:1]
	s_clause 0x1
	global_load_dwordx4 v[173:176], v[2:3], off offset:352
	global_load_dwordx4 v[177:180], v[2:3], off offset:608
	ds_read_b128 v[0:3], v204 offset:4608
	ds_read_b128 v[241:244], v204 offset:4864
	s_waitcnt vmcnt(1) lgkmcnt(1)
	v_mul_f64 v[12:13], v[2:3], v[175:176]
	v_fma_f64 v[68:69], v[0:1], v[173:174], -v[12:13]
	v_mul_f64 v[0:1], v[0:1], v[175:176]
	v_fma_f64 v[70:71], v[2:3], v[173:174], v[0:1]
	s_waitcnt vmcnt(0) lgkmcnt(0)
	v_mul_f64 v[0:1], v[243:244], v[179:180]
	v_fma_f64 v[72:73], v[241:242], v[177:178], -v[0:1]
	v_mul_f64 v[0:1], v[241:242], v[179:180]
	v_fma_f64 v[74:75], v[243:244], v[177:178], v[0:1]
	ds_read_b128 v[0:3], v204
	ds_read_b128 v[241:244], v204 offset:256
	ds_read_b128 v[12:15], v204 offset:512
	;; [unrolled: 1-line block ×9, first 2 shown]
	s_waitcnt lgkmcnt(9)
	v_add_f64 v[4:5], v[0:1], -v[4:5]
	v_add_f64 v[6:7], v[2:3], -v[6:7]
	s_waitcnt lgkmcnt(8)
	v_add_f64 v[8:9], v[241:242], -v[8:9]
	v_add_f64 v[10:11], v[243:244], -v[10:11]
	;; [unrolled: 3-line block ×10, first 2 shown]
	v_fma_f64 v[0:1], v[0:1], 2.0, -v[4:5]
	v_fma_f64 v[2:3], v[2:3], 2.0, -v[6:7]
	;; [unrolled: 1-line block ×20, first 2 shown]
	ds_write_b128 v204, v[0:3]
	ds_write_b128 v203, v[4:7] offset:2560
	ds_write_b128 v204, v[241:244] offset:256
	;; [unrolled: 1-line block ×19, first 2 shown]
	s_waitcnt lgkmcnt(0)
	s_barrier
	buffer_gl0_inv
	global_load_dwordx4 v[0:3], v201, s[6:7]
	ds_read_b128 v[4:7], v204
	ds_read_b128 v[8:11], v204 offset:512
	global_load_dwordx4 v[12:15], v201, s[6:7] offset:256
	s_waitcnt vmcnt(1) lgkmcnt(1)
	v_mul_f64 v[16:17], v[6:7], v[2:3]
	v_mul_f64 v[18:19], v[4:5], v[2:3]
	v_fma_f64 v[2:3], v[4:5], v[0:1], -v[16:17]
	v_fma_f64 v[4:5], v[6:7], v[0:1], v[18:19]
	s_clause 0x1
	global_load_dwordx4 v[16:19], v201, s[6:7] offset:512
	global_load_dwordx4 v[20:23], v201, s[6:7] offset:768
	s_waitcnt vmcnt(1) lgkmcnt(0)
	v_mul_f64 v[0:1], v[10:11], v[18:19]
	v_mul_f64 v[18:19], v[8:9], v[18:19]
	v_fma_f64 v[6:7], v[8:9], v[16:17], -v[0:1]
	v_fma_f64 v[8:9], v[10:11], v[16:17], v[18:19]
	global_load_dwordx4 v[16:19], v201, s[6:7] offset:1024
	ds_read_b128 v[24:27], v204 offset:1024
	ds_read_b128 v[28:31], v204 offset:1536
	global_load_dwordx4 v[32:35], v201, s[6:7] offset:1280
	s_waitcnt vmcnt(1) lgkmcnt(1)
	v_mul_f64 v[0:1], v[26:27], v[18:19]
	v_mul_f64 v[10:11], v[24:25], v[18:19]
	v_fma_f64 v[24:25], v[24:25], v[16:17], -v[0:1]
	v_fma_f64 v[26:27], v[26:27], v[16:17], v[10:11]
	s_clause 0x1
	global_load_dwordx4 v[16:19], v201, s[6:7] offset:1536
	global_load_dwordx4 v[36:39], v201, s[6:7] offset:1792
	s_waitcnt vmcnt(1) lgkmcnt(0)
	v_mul_f64 v[0:1], v[30:31], v[18:19]
	v_mul_f64 v[10:11], v[28:29], v[18:19]
	v_fma_f64 v[28:29], v[28:29], v[16:17], -v[0:1]
	v_fma_f64 v[30:31], v[30:31], v[16:17], v[10:11]
	s_clause 0x1
	global_load_dwordx4 v[16:19], v183, s[6:7]
	global_load_dwordx4 v[40:43], v184, s[6:7]
	ds_read_b128 v[44:47], v204 offset:2048
	ds_read_b128 v[48:51], v204 offset:2560
	s_waitcnt vmcnt(1) lgkmcnt(1)
	v_mul_f64 v[0:1], v[46:47], v[18:19]
	v_mul_f64 v[10:11], v[44:45], v[18:19]
	v_fma_f64 v[44:45], v[44:45], v[16:17], -v[0:1]
	v_fma_f64 v[46:47], v[46:47], v[16:17], v[10:11]
	s_waitcnt vmcnt(0) lgkmcnt(0)
	v_mul_f64 v[0:1], v[50:51], v[42:43]
	v_mul_f64 v[10:11], v[48:49], v[42:43]
	v_fma_f64 v[16:17], v[48:49], v[40:41], -v[0:1]
	v_fma_f64 v[18:19], v[50:51], v[40:41], v[10:11]
	ds_write_b128 v204, v[2:5]
	ds_write_b128 v204, v[6:9] offset:512
	ds_write_b128 v204, v[24:27] offset:1024
	;; [unrolled: 1-line block ×5, first 2 shown]
	s_clause 0x1
	buffer_load_dword v0, off, s[28:31], 0 offset:460
	buffer_load_dword v4, off, s[28:31], 0 offset:464
	s_waitcnt vmcnt(1)
	global_load_dwordx4 v[0:3], v0, s[6:7]
	s_waitcnt vmcnt(1)
	global_load_dwordx4 v[4:7], v4, s[6:7]
	ds_read_b128 v[8:11], v203 offset:3072
	ds_read_b128 v[16:19], v203 offset:3584
	s_waitcnt vmcnt(1) lgkmcnt(1)
	v_mul_f64 v[24:25], v[10:11], v[2:3]
	v_mul_f64 v[2:3], v[8:9], v[2:3]
	v_fma_f64 v[8:9], v[8:9], v[0:1], -v[24:25]
	v_fma_f64 v[10:11], v[10:11], v[0:1], v[2:3]
	s_waitcnt vmcnt(0) lgkmcnt(0)
	v_mul_f64 v[0:1], v[18:19], v[6:7]
	v_mul_f64 v[2:3], v[16:17], v[6:7]
	v_fma_f64 v[0:1], v[16:17], v[4:5], -v[0:1]
	v_fma_f64 v[2:3], v[18:19], v[4:5], v[2:3]
	buffer_load_dword v4, off, s[28:31], 0 offset:468 ; 4-byte Folded Reload
	s_waitcnt vmcnt(0)
	s_clause 0x1
	global_load_dwordx4 v[4:7], v4, s[6:7]
	global_load_dwordx4 v[16:19], v247, s[6:7]
	ds_read_b128 v[24:27], v203 offset:4096
	ds_read_b128 v[28:31], v203 offset:4608
	s_waitcnt vmcnt(1) lgkmcnt(1)
	v_mul_f64 v[40:41], v[26:27], v[6:7]
	v_mul_f64 v[6:7], v[24:25], v[6:7]
	v_fma_f64 v[24:25], v[24:25], v[4:5], -v[40:41]
	v_fma_f64 v[26:27], v[26:27], v[4:5], v[6:7]
	s_waitcnt vmcnt(0) lgkmcnt(0)
	v_mul_f64 v[4:5], v[30:31], v[18:19]
	v_mul_f64 v[6:7], v[28:29], v[18:19]
	v_fma_f64 v[4:5], v[28:29], v[16:17], -v[4:5]
	v_fma_f64 v[6:7], v[30:31], v[16:17], v[6:7]
	ds_write_b128 v203, v[8:11] offset:3072
	ds_write_b128 v203, v[0:3] offset:3584
	;; [unrolled: 1-line block ×4, first 2 shown]
	ds_read_b128 v[0:3], v204 offset:256
	ds_read_b128 v[4:7], v204 offset:768
	s_waitcnt lgkmcnt(1)
	v_mul_f64 v[8:9], v[2:3], v[14:15]
	v_mul_f64 v[10:11], v[0:1], v[14:15]
	v_fma_f64 v[0:1], v[0:1], v[12:13], -v[8:9]
	v_fma_f64 v[2:3], v[2:3], v[12:13], v[10:11]
	s_waitcnt lgkmcnt(0)
	v_mul_f64 v[8:9], v[6:7], v[22:23]
	v_mul_f64 v[10:11], v[4:5], v[22:23]
	v_fma_f64 v[4:5], v[4:5], v[20:21], -v[8:9]
	v_fma_f64 v[6:7], v[6:7], v[20:21], v[10:11]
	ds_write_b128 v204, v[0:3] offset:256
	ds_write_b128 v204, v[4:7] offset:768
	ds_read_b128 v[0:3], v203 offset:1280
	ds_read_b128 v[4:7], v203 offset:1792
	buffer_load_dword v12, off, s[28:31], 0 offset:476 ; 4-byte Folded Reload
	ds_read_b128 v[16:19], v203 offset:2304
	s_waitcnt lgkmcnt(2)
	v_mul_f64 v[8:9], v[2:3], v[34:35]
	v_mul_f64 v[10:11], v[0:1], v[34:35]
	v_fma_f64 v[0:1], v[0:1], v[32:33], -v[8:9]
	v_fma_f64 v[2:3], v[2:3], v[32:33], v[10:11]
	s_waitcnt lgkmcnt(1)
	v_mul_f64 v[8:9], v[6:7], v[38:39]
	v_mul_f64 v[10:11], v[4:5], v[38:39]
	v_fma_f64 v[4:5], v[4:5], v[36:37], -v[8:9]
	v_fma_f64 v[6:7], v[6:7], v[36:37], v[10:11]
	global_load_dwordx4 v[8:11], v202, s[6:7]
	s_waitcnt vmcnt(1)
	global_load_dwordx4 v[12:15], v12, s[6:7]
	s_waitcnt vmcnt(1) lgkmcnt(0)
	v_mul_f64 v[20:21], v[18:19], v[10:11]
	v_mul_f64 v[10:11], v[16:17], v[10:11]
	v_fma_f64 v[16:17], v[16:17], v[8:9], -v[20:21]
	v_fma_f64 v[18:19], v[18:19], v[8:9], v[10:11]
	ds_write_b128 v203, v[0:3] offset:1280
	ds_write_b128 v203, v[4:7] offset:1792
	;; [unrolled: 1-line block ×3, first 2 shown]
	ds_read_b128 v[0:3], v204 offset:2816
	s_waitcnt vmcnt(0) lgkmcnt(0)
	v_mul_f64 v[4:5], v[2:3], v[14:15]
	v_mul_f64 v[6:7], v[0:1], v[14:15]
	v_fma_f64 v[0:1], v[0:1], v[12:13], -v[4:5]
	v_fma_f64 v[2:3], v[2:3], v[12:13], v[6:7]
	buffer_load_dword v4, off, s[28:31], 0 offset:456 ; 4-byte Folded Reload
	ds_write_b128 v204, v[0:3] offset:2816
	buffer_load_dword v0, off, s[28:31], 0 offset:472 ; 4-byte Folded Reload
	s_waitcnt vmcnt(1)
	global_load_dwordx4 v[4:7], v4, s[6:7]
	s_waitcnt vmcnt(1)
	global_load_dwordx4 v[0:3], v0, s[6:7]
	ds_read_b128 v[8:11], v203 offset:3328
	ds_read_b128 v[12:15], v203 offset:3840
	s_waitcnt vmcnt(0) lgkmcnt(1)
	v_mul_f64 v[16:17], v[10:11], v[2:3]
	v_mul_f64 v[2:3], v[8:9], v[2:3]
	v_fma_f64 v[8:9], v[8:9], v[0:1], -v[16:17]
	v_fma_f64 v[10:11], v[10:11], v[0:1], v[2:3]
	s_waitcnt lgkmcnt(0)
	v_mul_f64 v[0:1], v[14:15], v[6:7]
	v_mul_f64 v[2:3], v[12:13], v[6:7]
	v_fma_f64 v[0:1], v[12:13], v[4:5], -v[0:1]
	v_fma_f64 v[2:3], v[14:15], v[4:5], v[2:3]
	buffer_load_dword v4, off, s[28:31], 0 offset:452 ; 4-byte Folded Reload
	s_waitcnt vmcnt(0)
	s_clause 0x1
	global_load_dwordx4 v[4:7], v4, s[6:7]
	global_load_dwordx4 v[12:15], v246, s[6:7]
	ds_read_b128 v[16:19], v203 offset:4352
	ds_read_b128 v[20:23], v203 offset:4864
	s_waitcnt vmcnt(1) lgkmcnt(1)
	v_mul_f64 v[24:25], v[18:19], v[6:7]
	v_mul_f64 v[6:7], v[16:17], v[6:7]
	v_fma_f64 v[16:17], v[16:17], v[4:5], -v[24:25]
	v_fma_f64 v[18:19], v[18:19], v[4:5], v[6:7]
	s_waitcnt vmcnt(0) lgkmcnt(0)
	v_mul_f64 v[4:5], v[22:23], v[14:15]
	v_mul_f64 v[6:7], v[20:21], v[14:15]
	v_fma_f64 v[4:5], v[20:21], v[12:13], -v[4:5]
	v_fma_f64 v[6:7], v[22:23], v[12:13], v[6:7]
	ds_write_b128 v203, v[8:11] offset:3328
	ds_write_b128 v203, v[0:3] offset:3840
	;; [unrolled: 1-line block ×4, first 2 shown]
	s_waitcnt lgkmcnt(0)
	s_barrier
	buffer_gl0_inv
	ds_read_b128 v[241:244], v204
	ds_read_b128 v[0:3], v204 offset:1024
	ds_read_b128 v[4:7], v204 offset:1536
	;; [unrolled: 1-line block ×5, first 2 shown]
	s_waitcnt lgkmcnt(4)
	v_add_f64 v[20:21], v[241:242], v[0:1]
	s_waitcnt lgkmcnt(1)
	v_add_f64 v[81:82], v[0:1], -v[12:13]
	v_add_f64 v[183:184], v[12:13], -v[0:1]
	;; [unrolled: 1-line block ×4, first 2 shown]
	s_waitcnt lgkmcnt(0)
	v_add_f64 v[246:247], v[4:5], -v[16:17]
	v_add_f64 v[70:71], v[16:17], -v[4:5]
	;; [unrolled: 1-line block ×4, first 2 shown]
	v_add_f64 v[32:33], v[20:21], v[12:13]
	v_add_f64 v[20:21], v[243:244], v[2:3]
	;; [unrolled: 1-line block ×3, first 2 shown]
	ds_read_b128 v[20:23], v203 offset:3072
	ds_read_b128 v[24:27], v203 offset:3328
	s_waitcnt lgkmcnt(1)
	v_add_f64 v[85:86], v[12:13], v[20:21]
	v_add_f64 v[56:57], v[14:15], -v[22:23]
	v_add_f64 v[46:47], v[14:15], v[22:23]
	v_add_f64 v[58:59], v[12:13], -v[20:21]
	ds_read_b128 v[12:15], v203 offset:4096
	ds_read_b128 v[28:31], v203 offset:4352
	s_waitcnt lgkmcnt(1)
	v_add_f64 v[60:61], v[2:3], -v[14:15]
	v_add_f64 v[52:53], v[0:1], v[12:13]
	v_add_f64 v[62:63], v[0:1], -v[12:13]
	v_add_f64 v[54:55], v[2:3], v[14:15]
	v_add_f64 v[0:1], v[32:33], v[20:21]
	;; [unrolled: 1-line block ×3, first 2 shown]
	v_add_f64 v[64:65], v[12:13], -v[20:21]
	v_add_f64 v[93:94], v[20:21], -v[12:13]
	;; [unrolled: 1-line block ×4, first 2 shown]
	v_fma_f64 v[46:47], v[46:47], -0.5, v[243:244]
	v_add_f64 v[72:73], v[0:1], v[12:13]
	v_add_f64 v[74:75], v[2:3], v[14:15]
	ds_read_b128 v[0:3], v204 offset:512
	ds_read_b128 v[48:51], v204 offset:768
	v_add_f64 v[64:65], v[81:82], v[64:65]
	v_add_f64 v[68:69], v[76:77], v[68:69]
	s_waitcnt lgkmcnt(1)
	v_add_f64 v[20:21], v[0:1], v[4:5]
	v_add_f64 v[201:202], v[20:21], v[16:17]
	;; [unrolled: 1-line block ×4, first 2 shown]
	ds_read_b128 v[20:23], v203 offset:3584
	ds_read_b128 v[32:35], v203 offset:3840
	s_waitcnt lgkmcnt(1)
	v_add_f64 v[10:11], v[16:17], v[20:21]
	v_add_f64 v[12:13], v[18:19], -v[22:23]
	v_add_f64 v[83:84], v[18:19], v[22:23]
	v_add_f64 v[91:92], v[16:17], -v[20:21]
	ds_read_b128 v[16:19], v203 offset:4608
	ds_read_b128 v[36:39], v203 offset:4864
	v_add_f64 v[78:79], v[79:80], v[22:23]
	s_waitcnt lgkmcnt(1)
	v_add_f64 v[89:90], v[6:7], -v[18:19]
	v_add_f64 v[8:9], v[4:5], v[16:17]
	v_add_f64 v[99:100], v[4:5], -v[16:17]
	v_add_f64 v[4:5], v[6:7], v[18:19]
	v_add_f64 v[6:7], v[201:202], v[20:21]
	v_add_f64 v[201:202], v[16:17], -v[20:21]
	v_add_f64 v[14:15], v[20:21], -v[16:17]
	;; [unrolled: 1-line block ×4, first 2 shown]
	v_add_f64 v[22:23], v[78:79], v[18:19]
	v_fma_f64 v[18:19], v[52:53], -0.5, v[241:242]
	v_fma_f64 v[52:53], v[54:55], -0.5, v[243:244]
	;; [unrolled: 1-line block ×3, first 2 shown]
	v_add_f64 v[54:55], v[183:184], v[93:94]
	v_fma_f64 v[8:9], v[8:9], -0.5, v[0:1]
	v_fma_f64 v[10:11], v[4:5], -0.5, v[2:3]
	v_add_f64 v[6:7], v[6:7], v[16:17]
	v_fma_f64 v[16:17], v[85:86], -0.5, v[241:242]
	v_fma_f64 v[241:242], v[83:84], -0.5, v[2:3]
	v_add_f64 v[40:41], v[40:41], v[20:21]
	v_add_f64 v[66:67], v[66:67], v[97:98]
	v_add_f64 v[85:86], v[74:75], v[22:23]
	v_add_f64 v[103:104], v[74:75], -v[22:23]
	v_add_f64 v[14:15], v[70:71], v[14:15]
	v_fma_f64 v[2:3], v[89:90], s[18:19], v[243:244]
	v_add_f64 v[74:75], v[95:96], v[87:88]
	v_add_f64 v[83:84], v[72:73], v[6:7]
	v_add_f64 v[101:102], v[72:73], -v[6:7]
	v_fma_f64 v[0:1], v[99:100], s[16:17], v[241:242]
	v_add_f64 v[72:73], v[246:247], v[201:202]
	v_fma_f64 v[6:7], v[62:63], s[16:17], v[46:47]
	v_fma_f64 v[2:3], v[12:13], s[14:15], v[2:3]
	v_fma_f64 v[0:1], v[91:92], s[8:9], v[0:1]
	v_fma_f64 v[6:7], v[58:59], s[8:9], v[6:7]
	v_fma_f64 v[2:3], v[72:73], s[12:13], v[2:3]
	v_fma_f64 v[0:1], v[40:41], s[12:13], v[0:1]
	v_fma_f64 v[6:7], v[68:69], s[12:13], v[6:7]
	v_mul_f64 v[4:5], v[0:1], s[14:15]
	v_fma_f64 v[4:5], v[2:3], s[20:21], v[4:5]
	v_mul_f64 v[2:3], v[2:3], s[8:9]
	v_fma_f64 v[0:1], v[0:1], s[20:21], v[2:3]
	v_fma_f64 v[2:3], v[60:61], s[18:19], v[16:17]
	;; [unrolled: 1-line block ×3, first 2 shown]
	v_add_f64 v[22:23], v[6:7], v[0:1]
	v_fma_f64 v[2:3], v[56:57], s[14:15], v[2:3]
	v_add_f64 v[78:79], v[6:7], -v[0:1]
	v_fma_f64 v[0:1], v[91:92], s[18:19], v[10:11]
	v_fma_f64 v[10:11], v[91:92], s[16:17], v[10:11]
	;; [unrolled: 1-line block ×7, first 2 shown]
	v_add_f64 v[20:21], v[2:3], v[4:5]
	v_add_f64 v[76:77], v[2:3], -v[4:5]
	v_fma_f64 v[2:3], v[12:13], s[16:17], v[8:9]
	v_fma_f64 v[0:1], v[66:67], s[12:13], v[0:1]
	;; [unrolled: 1-line block ×5, first 2 shown]
	v_mul_f64 v[4:5], v[0:1], s[18:19]
	v_mul_f64 v[0:1], v[0:1], s[12:13]
	v_fma_f64 v[8:9], v[89:90], s[8:9], v[8:9]
	v_fma_f64 v[2:3], v[14:15], s[12:13], v[2:3]
	;; [unrolled: 1-line block ×3, first 2 shown]
	v_mul_f64 v[14:15], v[10:11], s[18:19]
	v_mul_f64 v[10:11], v[10:11], s[22:23]
	v_fma_f64 v[6:7], v[2:3], s[16:17], v[0:1]
	v_fma_f64 v[0:1], v[56:57], s[16:17], v[18:19]
	;; [unrolled: 1-line block ×16, first 2 shown]
	v_add_f64 v[0:1], v[70:71], v[4:5]
	v_add_f64 v[8:9], v[18:19], v[14:15]
	v_add_f64 v[52:53], v[18:19], -v[14:15]
	v_fma_f64 v[14:15], v[99:100], s[18:19], v[241:242]
	v_fma_f64 v[18:19], v[62:63], s[18:19], v[46:47]
	;; [unrolled: 1-line block ×3, first 2 shown]
	v_add_f64 v[2:3], v[80:81], v[6:7]
	v_add_f64 v[10:11], v[54:55], v[66:67]
	v_add_f64 v[4:5], v[70:71], -v[4:5]
	v_add_f64 v[54:55], v[54:55], -v[66:67]
	;; [unrolled: 1-line block ×3, first 2 shown]
	s_waitcnt lgkmcnt(0)
	v_add_f64 v[80:81], v[36:37], -v[32:33]
	v_fma_f64 v[14:15], v[91:92], s[14:15], v[14:15]
	v_fma_f64 v[18:19], v[58:59], s[14:15], v[18:19]
	v_fma_f64 v[12:13], v[12:13], s[8:9], v[46:47]
	v_fma_f64 v[14:15], v[40:41], s[12:13], v[14:15]
	v_fma_f64 v[18:19], v[68:69], s[12:13], v[18:19]
	v_fma_f64 v[12:13], v[72:73], s[12:13], v[12:13]
	ds_read_b128 v[64:67], v203 offset:1280
	ds_read_b128 v[68:71], v203 offset:1792
	;; [unrolled: 1-line block ×4, first 2 shown]
	s_waitcnt lgkmcnt(0)
	s_barrier
	buffer_gl0_inv
	v_mul_f64 v[40:41], v[14:15], s[14:15]
	v_mul_f64 v[14:15], v[14:15], s[24:25]
	v_add_f64 v[46:47], v[72:73], -v[24:25]
	v_fma_f64 v[40:41], v[12:13], s[24:25], v[40:41]
	v_fma_f64 v[12:13], v[12:13], s[8:9], v[14:15]
	v_add_f64 v[14:15], v[66:67], v[30:31]
	v_add_f64 v[56:57], v[16:17], v[40:41]
	;; [unrolled: 1-line block ×3, first 2 shown]
	v_add_f64 v[60:61], v[16:17], -v[40:41]
	v_add_f64 v[62:63], v[18:19], -v[12:13]
	ds_write_b128 v181, v[83:86]
	ds_write_b128 v181, v[101:104] offset:80
	ds_write_b128 v181, v[20:23] offset:16
	;; [unrolled: 1-line block ×9, first 2 shown]
	v_add_f64 v[0:1], v[42:43], v[64:65]
	v_add_f64 v[2:3], v[44:45], v[66:67]
	;; [unrolled: 1-line block ×3, first 2 shown]
	v_add_f64 v[54:55], v[64:65], -v[28:29]
	v_add_f64 v[20:21], v[28:29], -v[24:25]
	v_add_f64 v[22:23], v[24:25], -v[28:29]
	v_add_f64 v[4:5], v[72:73], v[24:25]
	v_add_f64 v[40:41], v[74:75], -v[26:27]
	v_add_f64 v[6:7], v[74:75], v[26:27]
	v_add_f64 v[52:53], v[66:67], -v[30:31]
	v_add_f64 v[8:9], v[64:65], -v[72:73]
	;; [unrolled: 1-line block ×3, first 2 shown]
	v_add_f64 v[64:65], v[243:244], v[34:35]
	v_add_f64 v[10:11], v[66:67], -v[74:75]
	v_add_f64 v[18:19], v[74:75], -v[66:67]
	v_add_f64 v[56:57], v[241:242], v[32:33]
	v_add_f64 v[60:61], v[68:69], -v[241:242]
	v_add_f64 v[62:63], v[241:242], -v[68:69]
	;; [unrolled: 1-line block ×3, first 2 shown]
	v_add_f64 v[78:79], v[68:69], v[36:37]
	v_add_f64 v[58:59], v[243:244], -v[34:35]
	v_add_f64 v[76:77], v[70:71], -v[38:39]
	v_add_f64 v[0:1], v[0:1], v[72:73]
	v_add_f64 v[2:3], v[2:3], v[74:75]
	v_add_f64 v[72:73], v[70:71], -v[243:244]
	v_add_f64 v[74:75], v[243:244], -v[70:71]
	v_add_f64 v[82:83], v[38:39], -v[34:35]
	v_fma_f64 v[84:85], v[4:5], -0.5, v[42:43]
	v_fma_f64 v[42:43], v[12:13], -0.5, v[42:43]
	;; [unrolled: 1-line block ×6, first 2 shown]
	v_add_f64 v[60:61], v[60:61], v[80:81]
	v_add_f64 v[0:1], v[0:1], v[24:25]
	;; [unrolled: 1-line block ×3, first 2 shown]
	v_add_f64 v[24:25], v[30:31], -v[26:27]
	v_add_f64 v[26:27], v[26:27], -v[30:31]
	v_add_f64 v[28:29], v[0:1], v[28:29]
	v_add_f64 v[0:1], v[48:49], v[68:69]
	;; [unrolled: 1-line block ×4, first 2 shown]
	v_add_f64 v[68:69], v[68:69], -v[36:37]
	v_add_f64 v[70:71], v[70:71], v[38:39]
	v_fma_f64 v[48:49], v[78:79], -0.5, v[48:49]
	v_add_f64 v[26:27], v[18:19], v[26:27]
	v_add_f64 v[0:1], v[0:1], v[241:242]
	;; [unrolled: 1-line block ×3, first 2 shown]
	v_fma_f64 v[50:51], v[70:71], -0.5, v[50:51]
	v_add_f64 v[70:71], v[72:73], v[82:83]
	v_fma_f64 v[18:19], v[58:59], s[16:17], v[48:49]
	v_add_f64 v[0:1], v[0:1], v[32:33]
	v_add_f64 v[32:33], v[32:33], -v[36:37]
	v_add_f64 v[2:3], v[2:3], v[34:35]
	v_add_f64 v[34:35], v[34:35], -v[38:39]
	v_fma_f64 v[18:19], v[76:77], s[14:15], v[18:19]
	v_add_f64 v[36:37], v[0:1], v[36:37]
	v_add_f64 v[38:39], v[2:3], v[38:39]
	;; [unrolled: 1-line block ×3, first 2 shown]
	v_add_f64 v[4:5], v[28:29], -v[36:37]
	v_add_f64 v[36:37], v[8:9], v[20:21]
	v_fma_f64 v[8:9], v[68:69], s[16:17], v[64:65]
	v_add_f64 v[2:3], v[30:31], v[38:39]
	v_add_f64 v[6:7], v[30:31], -v[38:39]
	v_add_f64 v[38:39], v[10:11], v[24:25]
	v_fma_f64 v[10:11], v[76:77], s[18:19], v[56:57]
	v_add_f64 v[30:31], v[74:75], v[34:35]
	v_add_f64 v[28:29], v[62:63], v[32:33]
	v_fma_f64 v[8:9], v[66:67], s[8:9], v[8:9]
	v_fma_f64 v[10:11], v[58:59], s[14:15], v[10:11]
	;; [unrolled: 1-line block ×5, first 2 shown]
	v_mul_f64 v[12:13], v[8:9], s[14:15]
	v_fma_f64 v[12:13], v[10:11], s[20:21], v[12:13]
	v_mul_f64 v[10:11], v[10:11], s[8:9]
	v_fma_f64 v[14:15], v[8:9], s[20:21], v[10:11]
	v_fma_f64 v[10:11], v[54:55], s[16:17], v[86:87]
	;; [unrolled: 1-line block ×7, first 2 shown]
	v_add_f64 v[10:11], v[24:25], v[14:15]
	v_add_f64 v[14:15], v[24:25], -v[14:15]
	v_add_f64 v[24:25], v[16:17], v[22:23]
	v_fma_f64 v[16:17], v[66:67], s[18:19], v[50:51]
	v_add_f64 v[8:9], v[20:21], v[12:13]
	v_add_f64 v[12:13], v[20:21], -v[12:13]
	v_fma_f64 v[16:17], v[68:69], s[8:9], v[16:17]
	v_fma_f64 v[16:17], v[30:31], s[12:13], v[16:17]
	v_mul_f64 v[20:21], v[16:17], s[18:19]
	v_mul_f64 v[16:17], v[16:17], s[12:13]
	v_fma_f64 v[20:21], v[18:19], s[12:13], v[20:21]
	v_fma_f64 v[22:23], v[18:19], s[16:17], v[16:17]
	;; [unrolled: 1-line block ×8, first 2 shown]
	v_add_f64 v[16:17], v[32:33], v[20:21]
	v_add_f64 v[20:21], v[32:33], -v[20:21]
	v_fma_f64 v[32:33], v[40:41], s[18:19], v[42:43]
	v_add_f64 v[18:19], v[34:35], v[22:23]
	v_add_f64 v[22:23], v[34:35], -v[22:23]
	v_fma_f64 v[42:43], v[54:55], s[18:19], v[86:87]
	v_fma_f64 v[32:33], v[52:53], s[8:9], v[32:33]
	;; [unrolled: 1-line block ×13, first 2 shown]
	v_mul_f64 v[28:29], v[24:25], s[18:19]
	v_mul_f64 v[24:25], v[24:25], s[22:23]
	v_fma_f64 v[28:29], v[26:27], s[22:23], v[28:29]
	v_fma_f64 v[30:31], v[26:27], s[16:17], v[24:25]
	v_add_f64 v[24:25], v[32:33], v[28:29]
	v_add_f64 v[28:29], v[32:33], -v[28:29]
	v_fma_f64 v[32:33], v[68:69], s[18:19], v[64:65]
	v_add_f64 v[26:27], v[34:35], v[30:31]
	v_add_f64 v[30:31], v[34:35], -v[30:31]
	v_fma_f64 v[34:35], v[52:53], s[16:17], v[84:85]
	v_fma_f64 v[32:33], v[66:67], s[14:15], v[32:33]
	;; [unrolled: 1-line block ×9, first 2 shown]
	v_mul_f64 v[40:41], v[32:33], s[14:15]
	v_mul_f64 v[32:33], v[32:33], s[24:25]
	v_fma_f64 v[40:41], v[34:35], s[24:25], v[40:41]
	v_fma_f64 v[42:43], v[34:35], s[8:9], v[32:33]
	v_add_f64 v[32:33], v[36:37], v[40:41]
	v_add_f64 v[34:35], v[38:39], v[42:43]
	v_add_f64 v[36:37], v[36:37], -v[40:41]
	v_add_f64 v[38:39], v[38:39], -v[42:43]
	ds_write_b128 v182, v[0:3]
	ds_write_b128 v182, v[8:11] offset:16
	ds_write_b128 v182, v[16:19] offset:32
	;; [unrolled: 1-line block ×9, first 2 shown]
	s_waitcnt lgkmcnt(0)
	s_barrier
	buffer_gl0_inv
	ds_read_b128 v[0:3], v204 offset:1280
	ds_read_b128 v[241:244], v204 offset:1024
	s_waitcnt lgkmcnt(1)
	v_mul_f64 v[4:5], v[123:124], v[2:3]
	v_fma_f64 v[16:17], v[121:122], v[0:1], v[4:5]
	v_mul_f64 v[0:1], v[123:124], v[0:1]
	v_fma_f64 v[18:19], v[121:122], v[2:3], -v[0:1]
	ds_read_b128 v[0:3], v204 offset:2560
	ds_read_b128 v[4:7], v204 offset:2816
	s_waitcnt lgkmcnt(1)
	v_mul_f64 v[8:9], v[187:188], v[2:3]
	v_fma_f64 v[20:21], v[185:186], v[0:1], v[8:9]
	v_mul_f64 v[0:1], v[187:188], v[0:1]
	v_fma_f64 v[22:23], v[185:186], v[2:3], -v[0:1]
	;; [unrolled: 7-line block ×4, first 2 shown]
	v_mul_f64 v[0:1], v[250:251], v[6:7]
	v_fma_f64 v[32:33], v[248:249], v[4:5], v[0:1]
	v_mul_f64 v[0:1], v[250:251], v[4:5]
	v_fma_f64 v[34:35], v[248:249], v[6:7], -v[0:1]
	ds_read_b128 v[0:3], v204 offset:4096
	ds_read_b128 v[4:7], v204 offset:4352
	s_waitcnt lgkmcnt(1)
	v_mul_f64 v[36:37], v[195:196], v[2:3]
	v_fma_f64 v[36:37], v[193:194], v[0:1], v[36:37]
	v_mul_f64 v[0:1], v[195:196], v[0:1]
	v_fma_f64 v[38:39], v[193:194], v[2:3], -v[0:1]
	v_mul_f64 v[0:1], v[211:212], v[14:15]
	v_fma_f64 v[247:248], v[209:210], v[12:13], v[0:1]
	v_mul_f64 v[0:1], v[211:212], v[12:13]
	v_fma_f64 v[249:250], v[209:210], v[14:15], -v[0:1]
	ds_read_b128 v[0:3], v204 offset:3072
	ds_read_b128 v[12:15], v204 offset:3328
	s_waitcnt lgkmcnt(1)
	v_mul_f64 v[40:41], v[207:208], v[2:3]
	v_fma_f64 v[42:43], v[205:206], v[0:1], v[40:41]
	v_mul_f64 v[0:1], v[207:208], v[0:1]
	v_fma_f64 v[209:210], v[205:206], v[2:3], -v[0:1]
	;; [unrolled: 11-line block ×4, first 2 shown]
	v_mul_f64 v[0:1], v[235:236], v[6:7]
	v_fma_f64 v[201:202], v[233:234], v[4:5], v[0:1]
	v_mul_f64 v[0:1], v[235:236], v[4:5]
	v_fma_f64 v[233:234], v[233:234], v[6:7], -v[0:1]
	v_mul_f64 v[0:1], v[231:232], v[10:11]
	v_fma_f64 v[219:220], v[229:230], v[8:9], v[0:1]
	v_mul_f64 v[0:1], v[231:232], v[8:9]
	v_fma_f64 v[213:214], v[229:230], v[10:11], -v[0:1]
	s_waitcnt lgkmcnt(0)
	v_mul_f64 v[0:1], v[239:240], v[14:15]
	v_fma_f64 v[227:228], v[237:238], v[12:13], v[0:1]
	v_mul_f64 v[0:1], v[239:240], v[12:13]
	v_fma_f64 v[215:216], v[237:238], v[14:15], -v[0:1]
	ds_read_b128 v[0:3], v204
	ds_read_b128 v[4:7], v204 offset:256
	ds_read_b128 v[185:188], v204 offset:512
	;; [unrolled: 1-line block ×3, first 2 shown]
	s_waitcnt lgkmcnt(0)
	s_barrier
	buffer_gl0_inv
	v_add_f64 v[8:9], v[0:1], -v[20:21]
	v_add_f64 v[10:11], v[2:3], -v[22:23]
	;; [unrolled: 1-line block ×4, first 2 shown]
	v_fma_f64 v[12:13], v[0:1], 2.0, -v[8:9]
	v_fma_f64 v[14:15], v[2:3], 2.0, -v[10:11]
	v_add_f64 v[0:1], v[8:9], v[20:21]
	v_add_f64 v[2:3], v[10:11], -v[22:23]
	v_fma_f64 v[8:9], v[8:9], 2.0, -v[0:1]
	v_fma_f64 v[10:11], v[10:11], 2.0, -v[2:3]
	ds_write_b128 v245, v[0:3] offset:480
	ds_write_b128 v245, v[8:11] offset:160
	v_fma_f64 v[0:1], v[16:17], 2.0, -v[22:23]
	v_fma_f64 v[2:3], v[18:19], 2.0, -v[20:21]
	v_add_f64 v[0:1], v[12:13], -v[0:1]
	v_add_f64 v[2:3], v[14:15], -v[2:3]
	v_fma_f64 v[8:9], v[12:13], 2.0, -v[0:1]
	v_fma_f64 v[10:11], v[14:15], 2.0, -v[2:3]
	ds_write_b128 v245, v[0:3] offset:320
	ds_write_b128 v245, v[8:11]
	v_add_f64 v[8:9], v[4:5], -v[32:33]
	v_add_f64 v[10:11], v[6:7], -v[34:35]
	v_fma_f64 v[0:1], v[4:5], 2.0, -v[8:9]
	v_add_f64 v[4:5], v[28:29], -v[36:37]
	v_fma_f64 v[2:3], v[6:7], 2.0, -v[10:11]
	;; [unrolled: 2-line block ×4, first 2 shown]
	v_add_f64 v[193:194], v[8:9], v[6:7]
	v_add_f64 v[189:190], v[0:1], -v[12:13]
	buffer_load_dword v12, off, s[28:31], 0 offset:480 ; 4-byte Folded Reload
	v_add_f64 v[191:192], v[2:3], -v[14:15]
	v_fma_f64 v[197:198], v[8:9], 2.0, -v[193:194]
	v_fma_f64 v[199:200], v[10:11], 2.0, -v[195:196]
	v_add_f64 v[8:9], v[185:186], -v[42:43]
	v_add_f64 v[10:11], v[187:188], -v[209:210]
	;; [unrolled: 1-line block ×3, first 2 shown]
	v_fma_f64 v[0:1], v[0:1], 2.0, -v[189:190]
	v_fma_f64 v[2:3], v[2:3], 2.0, -v[191:192]
	;; [unrolled: 1-line block ×4, first 2 shown]
	s_waitcnt vmcnt(0)
	ds_write_b128 v12, v[0:3]
	ds_write_b128 v12, v[197:200] offset:160
	ds_write_b128 v12, v[189:192] offset:320
	;; [unrolled: 1-line block ×3, first 2 shown]
	buffer_load_dword v16, off, s[28:31], 0 offset:340 ; 4-byte Folded Reload
	v_add_f64 v[12:13], v[247:248], -v[44:45]
	v_fma_f64 v[2:3], v[249:250], 2.0, -v[14:15]
	v_fma_f64 v[0:1], v[247:248], 2.0, -v[12:13]
	v_add_f64 v[2:3], v[6:7], -v[2:3]
	v_add_f64 v[0:1], v[4:5], -v[0:1]
	v_fma_f64 v[6:7], v[6:7], 2.0, -v[2:3]
	v_fma_f64 v[4:5], v[4:5], 2.0, -v[0:1]
	s_waitcnt vmcnt(0)
	ds_write_b128 v16, v[4:7]
	v_add_f64 v[4:5], v[8:9], v[14:15]
	v_add_f64 v[6:7], v[10:11], -v[12:13]
	v_add_f64 v[12:13], v[205:206], -v[225:226]
	;; [unrolled: 1-line block ×3, first 2 shown]
	v_fma_f64 v[8:9], v[8:9], 2.0, -v[4:5]
	v_fma_f64 v[10:11], v[10:11], 2.0, -v[6:7]
	ds_write_b128 v16, v[8:11] offset:160
	ds_write_b128 v16, v[0:3] offset:320
	;; [unrolled: 1-line block ×3, first 2 shown]
	buffer_load_dword v16, off, s[28:31], 0 offset:344 ; 4-byte Folded Reload
	v_add_f64 v[8:9], v[181:182], -v[221:222]
	v_add_f64 v[10:11], v[183:184], -v[223:224]
	v_fma_f64 v[0:1], v[205:206], 2.0, -v[12:13]
	v_fma_f64 v[2:3], v[207:208], 2.0, -v[14:15]
	;; [unrolled: 1-line block ×4, first 2 shown]
	v_add_f64 v[0:1], v[4:5], -v[0:1]
	v_add_f64 v[2:3], v[6:7], -v[2:3]
	v_fma_f64 v[4:5], v[4:5], 2.0, -v[0:1]
	v_fma_f64 v[6:7], v[6:7], 2.0, -v[2:3]
	s_waitcnt vmcnt(0)
	ds_write_b128 v16, v[4:7]
	v_add_f64 v[4:5], v[8:9], v[14:15]
	v_add_f64 v[6:7], v[10:11], -v[12:13]
	v_add_f64 v[12:13], v[201:202], -v[227:228]
	;; [unrolled: 1-line block ×3, first 2 shown]
	v_fma_f64 v[8:9], v[8:9], 2.0, -v[4:5]
	v_fma_f64 v[10:11], v[10:11], 2.0, -v[6:7]
	ds_write_b128 v16, v[8:11] offset:160
	ds_write_b128 v16, v[0:3] offset:320
	;; [unrolled: 1-line block ×3, first 2 shown]
	buffer_load_dword v16, off, s[28:31], 0 offset:348 ; 4-byte Folded Reload
	v_add_f64 v[8:9], v[241:242], -v[219:220]
	v_add_f64 v[10:11], v[243:244], -v[213:214]
	v_fma_f64 v[0:1], v[201:202], 2.0, -v[12:13]
	v_fma_f64 v[2:3], v[233:234], 2.0, -v[14:15]
	v_fma_f64 v[4:5], v[241:242], 2.0, -v[8:9]
	v_fma_f64 v[6:7], v[243:244], 2.0, -v[10:11]
	v_add_f64 v[0:1], v[4:5], -v[0:1]
	v_add_f64 v[2:3], v[6:7], -v[2:3]
	v_fma_f64 v[4:5], v[4:5], 2.0, -v[0:1]
	v_fma_f64 v[6:7], v[6:7], 2.0, -v[2:3]
	s_waitcnt vmcnt(0)
	ds_write_b128 v16, v[4:7]
	v_add_f64 v[4:5], v[8:9], v[14:15]
	v_add_f64 v[6:7], v[10:11], -v[12:13]
	v_fma_f64 v[8:9], v[8:9], 2.0, -v[4:5]
	v_fma_f64 v[10:11], v[10:11], 2.0, -v[6:7]
	ds_write_b128 v16, v[8:11] offset:160
	ds_write_b128 v16, v[0:3] offset:320
	;; [unrolled: 1-line block ×3, first 2 shown]
	s_waitcnt lgkmcnt(0)
	s_barrier
	buffer_gl0_inv
	ds_read_b128 v[0:3], v204 offset:1280
	ds_read_b128 v[4:7], v204 offset:1024
	s_clause 0x3
	buffer_load_dword v10, off, s[28:31], 0 offset:352
	buffer_load_dword v11, off, s[28:31], 0 offset:356
	;; [unrolled: 1-line block ×4, first 2 shown]
	s_waitcnt vmcnt(0) lgkmcnt(1)
	v_mul_f64 v[8:9], v[12:13], v[2:3]
	v_fma_f64 v[24:25], v[10:11], v[0:1], v[8:9]
	v_mul_f64 v[0:1], v[12:13], v[0:1]
	v_fma_f64 v[26:27], v[10:11], v[2:3], -v[0:1]
	ds_read_b128 v[0:3], v204 offset:2560
	ds_read_b128 v[8:11], v204 offset:2816
	s_clause 0x3
	buffer_load_dword v14, off, s[28:31], 0 offset:368
	buffer_load_dword v15, off, s[28:31], 0 offset:372
	;; [unrolled: 1-line block ×4, first 2 shown]
	s_waitcnt vmcnt(0) lgkmcnt(1)
	v_mul_f64 v[12:13], v[16:17], v[2:3]
	v_fma_f64 v[20:21], v[14:15], v[0:1], v[12:13]
	v_mul_f64 v[0:1], v[16:17], v[0:1]
	v_fma_f64 v[22:23], v[14:15], v[2:3], -v[0:1]
	ds_read_b128 v[0:3], v204 offset:3840
	ds_read_b128 v[12:15], v204 offset:3584
	s_clause 0x3
	buffer_load_dword v30, off, s[28:31], 0 offset:384
	buffer_load_dword v31, off, s[28:31], 0 offset:388
	;; [unrolled: 1-line block ×4, first 2 shown]
	s_waitcnt vmcnt(0) lgkmcnt(1)
	v_mul_f64 v[16:17], v[32:33], v[2:3]
	v_fma_f64 v[28:29], v[30:31], v[0:1], v[16:17]
	v_mul_f64 v[0:1], v[32:33], v[0:1]
	v_add_f64 v[28:29], v[24:25], -v[28:29]
	v_fma_f64 v[30:31], v[30:31], v[2:3], -v[0:1]
	ds_read_b128 v[0:3], v204 offset:1536
	ds_read_b128 v[16:19], v204 offset:1792
	s_clause 0x3
	buffer_load_dword v38, off, s[28:31], 0 offset:400
	buffer_load_dword v39, off, s[28:31], 0 offset:404
	;; [unrolled: 1-line block ×4, first 2 shown]
	s_waitcnt lgkmcnt(1)
	v_mul_f64 v[32:33], v[254:255], v[2:3]
	v_add_f64 v[30:31], v[26:27], -v[30:31]
	v_fma_f64 v[32:33], v[252:253], v[0:1], v[32:33]
	v_mul_f64 v[0:1], v[254:255], v[0:1]
	v_fma_f64 v[34:35], v[252:253], v[2:3], -v[0:1]
	s_waitcnt vmcnt(0)
	v_mul_f64 v[0:1], v[40:41], v[10:11]
	v_fma_f64 v[36:37], v[38:39], v[8:9], v[0:1]
	v_mul_f64 v[0:1], v[40:41], v[8:9]
	v_fma_f64 v[38:39], v[38:39], v[10:11], -v[0:1]
	ds_read_b128 v[0:3], v204 offset:4096
	ds_read_b128 v[8:11], v204 offset:4352
	s_waitcnt lgkmcnt(1)
	v_mul_f64 v[40:41], v[111:112], v[2:3]
	v_fma_f64 v[40:41], v[109:110], v[0:1], v[40:41]
	v_mul_f64 v[0:1], v[111:112], v[0:1]
	v_add_f64 v[40:41], v[32:33], -v[40:41]
	v_fma_f64 v[42:43], v[109:110], v[2:3], -v[0:1]
	v_mul_f64 v[0:1], v[107:108], v[18:19]
	v_add_f64 v[42:43], v[34:35], -v[42:43]
	v_fma_f64 v[44:45], v[105:106], v[16:17], v[0:1]
	v_mul_f64 v[0:1], v[107:108], v[16:17]
	v_fma_f64 v[46:47], v[105:106], v[18:19], -v[0:1]
	ds_read_b128 v[0:3], v204 offset:3072
	ds_read_b128 v[16:19], v204 offset:3328
	s_waitcnt lgkmcnt(1)
	v_mul_f64 v[48:49], v[115:116], v[2:3]
	v_fma_f64 v[48:49], v[113:114], v[0:1], v[48:49]
	v_mul_f64 v[0:1], v[115:116], v[0:1]
	v_fma_f64 v[50:51], v[113:114], v[2:3], -v[0:1]
	v_mul_f64 v[0:1], v[127:128], v[10:11]
	v_fma_f64 v[52:53], v[125:126], v[8:9], v[0:1]
	v_mul_f64 v[0:1], v[127:128], v[8:9]
	v_fma_f64 v[54:55], v[125:126], v[10:11], -v[0:1]
	ds_read_b128 v[0:3], v204 offset:2048
	ds_read_b128 v[8:11], v204 offset:2304
	s_clause 0x3
	buffer_load_dword v58, off, s[28:31], 0 offset:416
	buffer_load_dword v59, off, s[28:31], 0 offset:420
	;; [unrolled: 1-line block ×4, first 2 shown]
	s_waitcnt vmcnt(0) lgkmcnt(1)
	v_mul_f64 v[56:57], v[60:61], v[2:3]
	v_fma_f64 v[56:57], v[58:59], v[0:1], v[56:57]
	v_mul_f64 v[0:1], v[60:61], v[0:1]
	v_fma_f64 v[58:59], v[58:59], v[2:3], -v[0:1]
	v_mul_f64 v[0:1], v[135:136], v[18:19]
	v_fma_f64 v[60:61], v[133:134], v[16:17], v[0:1]
	v_mul_f64 v[0:1], v[135:136], v[16:17]
	v_fma_f64 v[62:63], v[133:134], v[18:19], -v[0:1]
	ds_read_b128 v[0:3], v204 offset:4608
	ds_read_b128 v[16:19], v204 offset:4864
	s_clause 0x3
	buffer_load_dword v70, off, s[28:31], 0 offset:432
	buffer_load_dword v71, off, s[28:31], 0 offset:436
	;; [unrolled: 1-line block ×4, first 2 shown]
	s_waitcnt lgkmcnt(1)
	v_mul_f64 v[64:65], v[119:120], v[2:3]
	v_fma_f64 v[64:65], v[117:118], v[0:1], v[64:65]
	v_mul_f64 v[0:1], v[119:120], v[0:1]
	v_fma_f64 v[66:67], v[117:118], v[2:3], -v[0:1]
	s_waitcnt vmcnt(0)
	v_mul_f64 v[0:1], v[72:73], v[10:11]
	v_fma_f64 v[68:69], v[70:71], v[8:9], v[0:1]
	v_mul_f64 v[0:1], v[72:73], v[8:9]
	v_fma_f64 v[70:71], v[70:71], v[10:11], -v[0:1]
	v_mul_f64 v[0:1], v[139:140], v[14:15]
	v_fma_f64 v[72:73], v[137:138], v[12:13], v[0:1]
	v_mul_f64 v[0:1], v[139:140], v[12:13]
	v_fma_f64 v[74:75], v[137:138], v[14:15], -v[0:1]
	s_waitcnt lgkmcnt(0)
	v_mul_f64 v[0:1], v[131:132], v[18:19]
	v_fma_f64 v[76:77], v[129:130], v[16:17], v[0:1]
	v_mul_f64 v[0:1], v[131:132], v[16:17]
	v_fma_f64 v[78:79], v[129:130], v[18:19], -v[0:1]
	ds_read_b128 v[0:3], v204
	ds_read_b128 v[8:11], v204 offset:256
	s_waitcnt lgkmcnt(1)
	v_add_f64 v[12:13], v[0:1], -v[20:21]
	v_add_f64 v[14:15], v[2:3], -v[22:23]
	s_waitcnt lgkmcnt(0)
	v_add_f64 v[36:37], v[8:9], -v[36:37]
	v_add_f64 v[38:39], v[10:11], -v[38:39]
	ds_read_b128 v[16:19], v204 offset:512
	ds_read_b128 v[20:23], v204 offset:768
	s_waitcnt lgkmcnt(0)
	s_barrier
	buffer_gl0_inv
	v_fma_f64 v[80:81], v[0:1], 2.0, -v[12:13]
	v_fma_f64 v[82:83], v[2:3], 2.0, -v[14:15]
	v_add_f64 v[0:1], v[12:13], v[30:31]
	v_add_f64 v[2:3], v[14:15], -v[28:29]
	v_fma_f64 v[84:85], v[8:9], 2.0, -v[36:37]
	v_fma_f64 v[86:87], v[10:11], 2.0, -v[38:39]
	;; [unrolled: 1-line block ×4, first 2 shown]
	ds_write_b128 v204, v[0:3] offset:1920
	v_add_f64 v[0:1], v[36:37], v[42:43]
	v_add_f64 v[2:3], v[38:39], -v[40:41]
	ds_write_b128 v204, v[0:3] offset:2176
	ds_write_b128 v204, v[12:15] offset:640
	v_fma_f64 v[8:9], v[36:37], 2.0, -v[0:1]
	v_fma_f64 v[10:11], v[38:39], 2.0, -v[2:3]
	;; [unrolled: 1-line block ×4, first 2 shown]
	v_add_f64 v[0:1], v[80:81], -v[0:1]
	v_add_f64 v[2:3], v[82:83], -v[2:3]
	ds_write_b128 v204, v[0:3] offset:1280
	ds_write_b128 v204, v[8:11] offset:896
	v_fma_f64 v[12:13], v[80:81], 2.0, -v[0:1]
	v_fma_f64 v[14:15], v[82:83], 2.0, -v[2:3]
	v_fma_f64 v[0:1], v[32:33], 2.0, -v[40:41]
	v_fma_f64 v[2:3], v[34:35], 2.0, -v[42:43]
	v_add_f64 v[0:1], v[84:85], -v[0:1]
	v_add_f64 v[2:3], v[86:87], -v[2:3]
	v_fma_f64 v[8:9], v[84:85], 2.0, -v[0:1]
	v_fma_f64 v[10:11], v[86:87], 2.0, -v[2:3]
	ds_write_b128 v204, v[0:3] offset:1536
	ds_write_b128 v204, v[12:15]
	ds_write_b128 v204, v[8:11] offset:256
	buffer_load_dword v24, off, s[28:31], 0 offset:448 ; 4-byte Folded Reload
	v_add_f64 v[12:13], v[16:17], -v[48:49]
	v_add_f64 v[14:15], v[18:19], -v[50:51]
	v_fma_f64 v[8:9], v[16:17], 2.0, -v[12:13]
	v_fma_f64 v[10:11], v[18:19], 2.0, -v[14:15]
	v_add_f64 v[16:17], v[44:45], -v[52:53]
	v_add_f64 v[18:19], v[46:47], -v[54:55]
	v_fma_f64 v[0:1], v[44:45], 2.0, -v[16:17]
	v_fma_f64 v[2:3], v[46:47], 2.0, -v[18:19]
	;; [unrolled: 4-line block ×3, first 2 shown]
	s_waitcnt vmcnt(0)
	ds_write_b128 v24, v[8:11]
	v_add_f64 v[8:9], v[12:13], v[18:19]
	v_add_f64 v[10:11], v[14:15], -v[16:17]
	v_add_f64 v[16:17], v[56:57], -v[64:65]
	;; [unrolled: 1-line block ×3, first 2 shown]
	v_fma_f64 v[12:13], v[12:13], 2.0, -v[8:9]
	v_fma_f64 v[14:15], v[14:15], 2.0, -v[10:11]
	ds_write_b128 v24, v[12:15] offset:640
	ds_write_b128 v24, v[0:3] offset:1280
	;; [unrolled: 1-line block ×3, first 2 shown]
	v_add_f64 v[12:13], v[20:21], -v[60:61]
	v_add_f64 v[14:15], v[22:23], -v[62:63]
	v_fma_f64 v[0:1], v[56:57], 2.0, -v[16:17]
	v_fma_f64 v[2:3], v[58:59], 2.0, -v[18:19]
	;; [unrolled: 1-line block ×4, first 2 shown]
	v_add_f64 v[0:1], v[8:9], -v[0:1]
	v_add_f64 v[2:3], v[10:11], -v[2:3]
	v_fma_f64 v[8:9], v[8:9], 2.0, -v[0:1]
	v_fma_f64 v[10:11], v[10:11], 2.0, -v[2:3]
	ds_write_b128 v204, v[8:11] offset:2688
	v_add_f64 v[8:9], v[12:13], v[18:19]
	v_add_f64 v[10:11], v[14:15], -v[16:17]
	v_fma_f64 v[12:13], v[12:13], 2.0, -v[8:9]
	v_fma_f64 v[14:15], v[14:15], 2.0, -v[10:11]
	ds_write_b128 v204, v[12:15] offset:3328
	ds_write_b128 v204, v[0:3] offset:3968
	;; [unrolled: 1-line block ×3, first 2 shown]
	v_add_f64 v[8:9], v[4:5], -v[72:73]
	v_add_f64 v[10:11], v[6:7], -v[74:75]
	;; [unrolled: 1-line block ×4, first 2 shown]
	v_fma_f64 v[4:5], v[4:5], 2.0, -v[8:9]
	v_fma_f64 v[6:7], v[6:7], 2.0, -v[10:11]
	;; [unrolled: 1-line block ×4, first 2 shown]
	v_add_f64 v[0:1], v[4:5], -v[0:1]
	v_add_f64 v[2:3], v[6:7], -v[2:3]
	v_fma_f64 v[4:5], v[4:5], 2.0, -v[0:1]
	v_fma_f64 v[6:7], v[6:7], 2.0, -v[2:3]
	ds_write_b128 v204, v[4:7] offset:2944
	v_add_f64 v[4:5], v[8:9], v[14:15]
	v_add_f64 v[6:7], v[10:11], -v[12:13]
	v_fma_f64 v[8:9], v[8:9], 2.0, -v[4:5]
	v_fma_f64 v[10:11], v[10:11], 2.0, -v[6:7]
	ds_write_b128 v204, v[8:11] offset:3584
	ds_write_b128 v204, v[0:3] offset:4224
	;; [unrolled: 1-line block ×3, first 2 shown]
	s_waitcnt lgkmcnt(0)
	s_barrier
	buffer_gl0_inv
	ds_read_b128 v[0:3], v204 offset:2560
	ds_read_b128 v[4:7], v204 offset:2816
	s_waitcnt lgkmcnt(1)
	v_mul_f64 v[8:9], v[143:144], v[2:3]
	v_fma_f64 v[8:9], v[141:142], v[0:1], v[8:9]
	v_mul_f64 v[0:1], v[143:144], v[0:1]
	v_fma_f64 v[10:11], v[141:142], v[2:3], -v[0:1]
	s_waitcnt lgkmcnt(0)
	v_mul_f64 v[0:1], v[147:148], v[6:7]
	v_fma_f64 v[12:13], v[145:146], v[4:5], v[0:1]
	v_mul_f64 v[0:1], v[147:148], v[4:5]
	v_fma_f64 v[14:15], v[145:146], v[6:7], -v[0:1]
	ds_read_b128 v[0:3], v204 offset:3072
	ds_read_b128 v[4:7], v204 offset:3328
	s_waitcnt lgkmcnt(1)
	v_mul_f64 v[16:17], v[151:152], v[2:3]
	v_fma_f64 v[24:25], v[149:150], v[0:1], v[16:17]
	v_mul_f64 v[0:1], v[151:152], v[0:1]
	v_fma_f64 v[26:27], v[149:150], v[2:3], -v[0:1]
	s_waitcnt lgkmcnt(0)
	v_mul_f64 v[0:1], v[155:156], v[6:7]
	v_fma_f64 v[28:29], v[153:154], v[4:5], v[0:1]
	v_mul_f64 v[0:1], v[155:156], v[4:5]
	v_fma_f64 v[30:31], v[153:154], v[6:7], -v[0:1]
	;; [unrolled: 12-line block ×5, first 2 shown]
	ds_read_b128 v[0:3], v204
	ds_read_b128 v[4:7], v204 offset:256
	ds_read_b128 v[16:19], v204 offset:512
	;; [unrolled: 1-line block ×9, first 2 shown]
	s_waitcnt lgkmcnt(9)
	v_add_f64 v[8:9], v[0:1], -v[8:9]
	v_add_f64 v[10:11], v[2:3], -v[10:11]
	s_waitcnt lgkmcnt(8)
	v_add_f64 v[12:13], v[4:5], -v[12:13]
	v_add_f64 v[14:15], v[6:7], -v[14:15]
	;; [unrolled: 3-line block ×10, first 2 shown]
	v_fma_f64 v[0:1], v[0:1], 2.0, -v[8:9]
	v_fma_f64 v[2:3], v[2:3], 2.0, -v[10:11]
	;; [unrolled: 1-line block ×20, first 2 shown]
	ds_write_b128 v204, v[8:11] offset:2560
	ds_write_b128 v204, v[12:15] offset:2816
	ds_write_b128 v204, v[0:3]
	ds_write_b128 v204, v[4:7] offset:256
	ds_write_b128 v204, v[16:19] offset:512
	;; [unrolled: 1-line block ×17, first 2 shown]
	s_waitcnt lgkmcnt(0)
	s_barrier
	buffer_gl0_inv
	ds_read_b128 v[0:3], v204
	ds_read_b128 v[4:7], v204 offset:512
	ds_read_b128 v[8:11], v204 offset:1024
	;; [unrolled: 1-line block ×3, first 2 shown]
	s_clause 0x3
	buffer_load_dword v16, off, s[28:31], 0 offset:256
	buffer_load_dword v17, off, s[28:31], 0 offset:260
	;; [unrolled: 1-line block ×4, first 2 shown]
	s_waitcnt vmcnt(2)
	v_mov_b32_e32 v37, v17
	s_waitcnt vmcnt(0) lgkmcnt(3)
	v_mul_f64 v[24:25], v[18:19], v[2:3]
	v_mul_f64 v[26:27], v[18:19], v[0:1]
	v_mov_b32_e32 v36, v16
	ds_read_b128 v[16:19], v204 offset:768
	s_clause 0x3
	buffer_load_dword v20, off, s[28:31], 0 offset:224
	buffer_load_dword v21, off, s[28:31], 0 offset:228
	;; [unrolled: 1-line block ×4, first 2 shown]
	v_fma_f64 v[34:35], v[36:37], v[0:1], v[24:25]
	v_fma_f64 v[36:37], v[36:37], v[2:3], -v[26:27]
	s_waitcnt vmcnt(0) lgkmcnt(3)
	v_mul_f64 v[28:29], v[22:23], v[6:7]
	v_mul_f64 v[30:31], v[22:23], v[4:5]
	v_mov_b32_e32 v43, v21
	v_mov_b32_e32 v42, v20
	ds_read_b128 v[20:23], v204 offset:1536
	s_clause 0x3
	buffer_load_dword v48, off, s[28:31], 0 offset:304
	buffer_load_dword v49, off, s[28:31], 0 offset:308
	;; [unrolled: 1-line block ×4, first 2 shown]
	ds_read_b128 v[0:3], v204 offset:2048
	ds_read_b128 v[24:27], v204 offset:2560
	v_fma_f64 v[40:41], v[42:43], v[4:5], v[28:29]
	v_fma_f64 v[42:43], v[42:43], v[6:7], -v[30:31]
	s_clause 0x3
	buffer_load_dword v4, off, s[28:31], 0 offset:240
	buffer_load_dword v5, off, s[28:31], 0 offset:244
	;; [unrolled: 1-line block ×4, first 2 shown]
	s_waitcnt vmcnt(4) lgkmcnt(5)
	v_mul_f64 v[32:33], v[50:51], v[10:11]
	v_mul_f64 v[38:39], v[50:51], v[8:9]
	s_waitcnt vmcnt(2)
	v_mov_b32_e32 v55, v5
	s_waitcnt vmcnt(0) lgkmcnt(2)
	v_mul_f64 v[28:29], v[6:7], v[22:23]
	v_mul_f64 v[30:31], v[6:7], v[20:21]
	v_mov_b32_e32 v54, v4
	s_clause 0x3
	buffer_load_dword v4, off, s[28:31], 0 offset:272
	buffer_load_dword v5, off, s[28:31], 0 offset:276
	;; [unrolled: 1-line block ×4, first 2 shown]
	v_fma_f64 v[32:33], v[48:49], v[8:9], v[32:33]
	v_fma_f64 v[38:39], v[48:49], v[10:11], -v[38:39]
	s_clause 0x3
	buffer_load_dword v8, off, s[28:31], 0 offset:288
	buffer_load_dword v9, off, s[28:31], 0 offset:292
	;; [unrolled: 1-line block ×4, first 2 shown]
	v_fma_f64 v[52:53], v[54:55], v[20:21], v[28:29]
	v_fma_f64 v[54:55], v[54:55], v[22:23], -v[30:31]
	s_waitcnt vmcnt(4) lgkmcnt(1)
	v_mul_f64 v[44:45], v[6:7], v[2:3]
	v_mul_f64 v[46:47], v[6:7], v[0:1]
	v_mov_b32_e32 v59, v5
	v_mov_b32_e32 v58, v4
	s_waitcnt vmcnt(2)
	v_mov_b32_e32 v57, v9
	s_waitcnt vmcnt(0) lgkmcnt(0)
	v_mul_f64 v[48:49], v[10:11], v[26:27]
	ds_read_b128 v[4:7], v203 offset:3072
	v_mul_f64 v[50:51], v[10:11], v[24:25]
	v_mov_b32_e32 v56, v8
	ds_read_b128 v[8:11], v203 offset:3584
	ds_read_b128 v[20:23], v203 offset:3328
	v_fma_f64 v[44:45], v[58:59], v[0:1], v[44:45]
	v_fma_f64 v[46:47], v[58:59], v[2:3], -v[46:47]
	ds_read_b128 v[0:3], v203 offset:3840
	s_clause 0x7
	buffer_load_dword v64, off, s[28:31], 0 offset:208
	buffer_load_dword v65, off, s[28:31], 0 offset:212
	;; [unrolled: 1-line block ×8, first 2 shown]
	v_fma_f64 v[48:49], v[56:57], v[24:25], v[48:49]
	v_fma_f64 v[50:51], v[56:57], v[26:27], -v[50:51]
	ds_read_b128 v[24:27], v203 offset:4096
	s_waitcnt vmcnt(4) lgkmcnt(4)
	v_mul_f64 v[28:29], v[66:67], v[6:7]
	v_mul_f64 v[30:31], v[66:67], v[4:5]
	s_waitcnt vmcnt(2)
	v_mov_b32_e32 v71, v61
	s_waitcnt vmcnt(0) lgkmcnt(3)
	v_mul_f64 v[56:57], v[62:63], v[10:11]
	v_mul_f64 v[58:59], v[62:63], v[8:9]
	v_mov_b32_e32 v70, v60
	v_fma_f64 v[60:61], v[64:65], v[4:5], v[28:29]
	v_fma_f64 v[62:63], v[64:65], v[6:7], -v[30:31]
	ds_read_b128 v[4:7], v203 offset:4352
	s_clause 0x3
	buffer_load_dword v28, off, s[28:31], 0 offset:176
	buffer_load_dword v29, off, s[28:31], 0 offset:180
	;; [unrolled: 1-line block ×4, first 2 shown]
	v_fma_f64 v[56:57], v[70:71], v[8:9], v[56:57]
	v_fma_f64 v[58:59], v[70:71], v[10:11], -v[58:59]
	s_waitcnt vmcnt(0) lgkmcnt(1)
	v_mul_f64 v[64:65], v[30:31], v[26:27]
	v_mul_f64 v[66:67], v[30:31], v[24:25]
	v_mov_b32_e32 v69, v29
	v_mov_b32_e32 v68, v28
	ds_read_b128 v[8:11], v203 offset:4608
	ds_read_b128 v[28:31], v203 offset:4864
	v_fma_f64 v[64:65], v[68:69], v[24:25], v[64:65]
	v_fma_f64 v[66:67], v[68:69], v[26:27], -v[66:67]
	s_clause 0x3
	buffer_load_dword v68, off, s[28:31], 0 offset:160
	buffer_load_dword v69, off, s[28:31], 0 offset:164
	;; [unrolled: 1-line block ×4, first 2 shown]
	s_waitcnt vmcnt(0) lgkmcnt(1)
	v_mul_f64 v[24:25], v[70:71], v[10:11]
	v_mul_f64 v[26:27], v[70:71], v[8:9]
	buffer_load_dword v70, off, s[28:31], 0 offset:336 ; 4-byte Folded Reload
	v_mov_b32_e32 v79, v69
	v_mov_b32_e32 v78, v68
	s_waitcnt vmcnt(0)
	v_mad_u64_u32 v[68:69], null, s0, v70, 0
	v_mad_u64_u32 v[69:70], null, s1, v70, v[69:70]
	s_clause 0x7
	buffer_load_dword v84, off, s[28:31], 0 offset:328
	buffer_load_dword v85, off, s[28:31], 0 offset:332
	;; [unrolled: 1-line block ×8, first 2 shown]
	v_lshlrev_b64 v[68:69], 4, v[68:69]
	s_waitcnt vmcnt(5)
	v_mov_b32_e32 v85, v70
	s_waitcnt vmcnt(2)
	v_mov_b32_e32 v83, v75
	s_waitcnt vmcnt(0)
	v_mul_f64 v[70:71], v[76:77], v[14:15]
	v_mul_f64 v[72:73], v[76:77], v[12:13]
	v_mov_b32_e32 v82, v74
	v_fma_f64 v[74:75], v[78:79], v[8:9], v[24:25]
	v_fma_f64 v[76:77], v[78:79], v[10:11], -v[26:27]
	s_clause 0x3
	buffer_load_dword v8, off, s[28:31], 0 offset:144
	buffer_load_dword v9, off, s[28:31], 0 offset:148
	;; [unrolled: 1-line block ×4, first 2 shown]
	ds_read_b128 v[24:27], v204 offset:2816
	v_fma_f64 v[70:71], v[82:83], v[12:13], v[70:71]
	v_fma_f64 v[72:73], v[82:83], v[14:15], -v[72:73]
	ds_read_b128 v[12:15], v203 offset:1792
	v_lshlrev_b64 v[82:83], 4, v[84:85]
	v_add_co_u32 v82, vcc_lo, s2, v82
	v_add_co_ci_u32_e32 v83, vcc_lo, s3, v83, vcc_lo
	s_lshl_b64 s[2:3], s[0:1], 9
	v_add_co_u32 v82, vcc_lo, v82, v68
	v_add_co_ci_u32_e32 v83, vcc_lo, v83, v69, vcc_lo
	s_mulk_i32 s1, 0xef00
	s_waitcnt vmcnt(2)
	v_mov_b32_e32 v87, v9
	s_waitcnt vmcnt(0)
	v_mul_f64 v[78:79], v[10:11], v[18:19]
	v_mul_f64 v[80:81], v[10:11], v[16:17]
	v_mov_b32_e32 v86, v8
	ds_read_b128 v[8:11], v203 offset:1280
	s_clause 0x3
	buffer_load_dword v88, off, s[28:31], 0 offset:112
	buffer_load_dword v89, off, s[28:31], 0 offset:116
	;; [unrolled: 1-line block ×4, first 2 shown]
	v_fma_f64 v[78:79], v[86:87], v[16:17], v[78:79]
	v_fma_f64 v[80:81], v[86:87], v[18:19], -v[80:81]
	ds_read_b128 v[16:19], v203 offset:2304
	s_waitcnt vmcnt(0) lgkmcnt(1)
	v_mul_f64 v[84:85], v[90:91], v[10:11]
	v_mul_f64 v[86:87], v[90:91], v[8:9]
	s_clause 0x3
	buffer_load_dword v90, off, s[28:31], 0 offset:96
	buffer_load_dword v91, off, s[28:31], 0 offset:100
	;; [unrolled: 1-line block ×4, first 2 shown]
	v_mov_b32_e32 v95, v89
	v_mov_b32_e32 v94, v88
	v_fma_f64 v[84:85], v[94:95], v[8:9], v[84:85]
	v_fma_f64 v[86:87], v[94:95], v[10:11], -v[86:87]
	s_waitcnt vmcnt(0)
	v_mul_f64 v[68:69], v[92:93], v[14:15]
	v_mul_f64 v[88:89], v[92:93], v[12:13]
	s_clause 0x3
	buffer_load_dword v92, off, s[28:31], 0 offset:80
	buffer_load_dword v93, off, s[28:31], 0 offset:84
	;; [unrolled: 1-line block ×4, first 2 shown]
	v_mov_b32_e32 v97, v91
	v_mov_b32_e32 v96, v90
	v_add_co_u32 v90, vcc_lo, v82, s2
	v_add_co_ci_u32_e32 v91, vcc_lo, s3, v83, vcc_lo
	v_fma_f64 v[68:69], v[96:97], v[12:13], v[68:69]
	v_fma_f64 v[88:89], v[96:97], v[14:15], -v[88:89]
	s_clause 0x3
	buffer_load_dword v96, off, s[28:31], 0 offset:64
	buffer_load_dword v97, off, s[28:31], 0 offset:68
	;; [unrolled: 1-line block ×4, first 2 shown]
	s_waitcnt vmcnt(4) lgkmcnt(0)
	v_mul_f64 v[8:9], v[94:95], v[18:19]
	v_mul_f64 v[10:11], v[94:95], v[16:17]
	v_mov_b32_e32 v103, v93
	v_mov_b32_e32 v102, v92
	v_add_co_u32 v92, vcc_lo, v90, s2
	v_add_co_ci_u32_e32 v93, vcc_lo, s3, v91, vcc_lo
	v_add_co_u32 v94, vcc_lo, v92, s2
	v_add_co_ci_u32_e32 v95, vcc_lo, s3, v93, vcc_lo
	v_fma_f64 v[100:101], v[102:103], v[16:17], v[8:9]
	v_fma_f64 v[102:103], v[102:103], v[18:19], -v[10:11]
	s_clause 0x3
	buffer_load_dword v16, off, s[28:31], 0 offset:48
	buffer_load_dword v17, off, s[28:31], 0 offset:52
	;; [unrolled: 1-line block ×4, first 2 shown]
	s_waitcnt vmcnt(4)
	v_mul_f64 v[12:13], v[98:99], v[26:27]
	v_mul_f64 v[14:15], v[98:99], v[24:25]
	v_mov_b32_e32 v111, v97
	v_mov_b32_e32 v110, v96
	v_add_co_u32 v96, vcc_lo, v94, s2
	v_add_co_ci_u32_e32 v97, vcc_lo, s3, v95, vcc_lo
	v_add_co_u32 v98, vcc_lo, v96, s2
	v_add_co_ci_u32_e32 v99, vcc_lo, s3, v97, vcc_lo
	;; [unrolled: 2-line block ×4, first 2 shown]
	v_fma_f64 v[108:109], v[110:111], v[24:25], v[12:13]
	v_fma_f64 v[110:111], v[110:111], v[26:27], -v[14:15]
	v_add_co_u32 v112, vcc_lo, v106, s2
	v_add_co_ci_u32_e32 v113, vcc_lo, s3, v107, vcc_lo
	v_add_co_u32 v114, vcc_lo, v112, s2
	v_add_co_ci_u32_e32 v115, vcc_lo, s3, v113, vcc_lo
	v_mad_u64_u32 v[120:121], null, 0xffffef00, s0, v[114:115]
	s_sub_i32 s0, s1, s0
	v_add_nc_u32_e32 v121, s0, v121
	v_add_co_u32 v122, vcc_lo, v120, s2
	s_mov_b32 s0, 0x9999999a
	s_mov_b32 s1, 0x3f699999
	v_add_co_ci_u32_e32 v123, vcc_lo, s3, v121, vcc_lo
	v_add_co_u32 v128, vcc_lo, v122, s2
	v_mul_f64 v[24:25], v[60:61], s[0:1]
	v_add_co_ci_u32_e32 v129, vcc_lo, s3, v123, vcc_lo
	v_add_co_u32 v130, vcc_lo, v128, s2
	v_mul_f64 v[26:27], v[62:63], s[0:1]
	;; [unrolled: 3-line block ×4, first 2 shown]
	v_add_co_ci_u32_e32 v139, vcc_lo, s3, v137, vcc_lo
	v_add_co_u32 v140, vcc_lo, v138, s2
	v_add_co_ci_u32_e32 v141, vcc_lo, s3, v139, vcc_lo
	v_add_co_u32 v142, vcc_lo, v140, s2
	;; [unrolled: 2-line block ×3, first 2 shown]
	v_add_co_ci_u32_e32 v149, vcc_lo, s3, v143, vcc_lo
	s_waitcnt vmcnt(2)
	v_mov_b32_e32 v119, v17
	s_waitcnt vmcnt(0)
	v_mul_f64 v[8:9], v[18:19], v[22:23]
	v_mul_f64 v[10:11], v[18:19], v[20:21]
	v_mov_b32_e32 v118, v16
	s_clause 0x3
	buffer_load_dword v16, off, s[28:31], 0 offset:32
	buffer_load_dword v17, off, s[28:31], 0 offset:36
	;; [unrolled: 1-line block ×4, first 2 shown]
	v_fma_f64 v[116:117], v[118:119], v[20:21], v[8:9]
	v_fma_f64 v[118:119], v[118:119], v[22:23], -v[10:11]
	v_mul_f64 v[22:23], v[50:51], s[0:1]
	v_mul_f64 v[50:51], v[86:87], s[0:1]
	s_waitcnt vmcnt(0)
	v_mul_f64 v[12:13], v[18:19], v[2:3]
	v_mul_f64 v[14:15], v[18:19], v[0:1]
	s_clause 0x3
	buffer_load_dword v18, off, s[28:31], 0 offset:16
	buffer_load_dword v19, off, s[28:31], 0 offset:20
	;; [unrolled: 1-line block ×4, first 2 shown]
	v_fma_f64 v[124:125], v[16:17], v[0:1], v[12:13]
	v_fma_f64 v[126:127], v[16:17], v[2:3], -v[14:15]
	s_clause 0x3
	buffer_load_dword v12, off, s[28:31], 0
	buffer_load_dword v13, off, s[28:31], 0 offset:4
	buffer_load_dword v14, off, s[28:31], 0 offset:8
	;; [unrolled: 1-line block ×3, first 2 shown]
	v_mul_f64 v[16:17], v[44:45], s[0:1]
	v_mul_f64 v[44:45], v[78:79], s[0:1]
	s_waitcnt vmcnt(4)
	v_mul_f64 v[8:9], v[20:21], v[6:7]
	v_mul_f64 v[10:11], v[20:21], v[4:5]
	;; [unrolled: 1-line block ×4, first 2 shown]
	s_waitcnt vmcnt(0)
	v_mul_f64 v[0:1], v[14:15], v[30:31]
	v_mul_f64 v[2:3], v[14:15], v[28:29]
	v_fma_f64 v[132:133], v[18:19], v[4:5], v[8:9]
	v_fma_f64 v[134:135], v[18:19], v[6:7], -v[10:11]
	v_mul_f64 v[4:5], v[40:41], s[0:1]
	v_mul_f64 v[6:7], v[42:43], s[0:1]
	;; [unrolled: 1-line block ×14, first 2 shown]
	v_add_co_u32 v80, vcc_lo, v148, s2
	v_add_co_ci_u32_e32 v81, vcc_lo, s3, v149, vcc_lo
	v_fma_f64 v[144:145], v[12:13], v[28:29], v[0:1]
	v_fma_f64 v[146:147], v[12:13], v[30:31], -v[2:3]
	v_mul_f64 v[0:1], v[34:35], s[0:1]
	v_mul_f64 v[2:3], v[36:37], s[0:1]
	v_mul_f64 v[12:13], v[52:53], s[0:1]
	v_mul_f64 v[28:29], v[56:57], s[0:1]
	v_mul_f64 v[30:31], v[58:59], s[0:1]
	v_mul_f64 v[34:35], v[66:67], s[0:1]
	v_mul_f64 v[36:37], v[74:75], s[0:1]
	v_mul_f64 v[52:53], v[68:69], s[0:1]
	v_mul_f64 v[56:57], v[100:101], s[0:1]
	v_mul_f64 v[58:59], v[102:103], s[0:1]
	v_mul_f64 v[66:67], v[118:119], s[0:1]
	v_mul_f64 v[68:69], v[124:125], s[0:1]
	v_mul_f64 v[72:73], v[132:133], s[0:1]
	v_mul_f64 v[74:75], v[134:135], s[0:1]
	v_mul_f64 v[76:77], v[144:145], s[0:1]
	v_mul_f64 v[78:79], v[146:147], s[0:1]
	global_store_dwordx4 v[82:83], v[0:3], off
	global_store_dwordx4 v[90:91], v[4:7], off
	;; [unrolled: 1-line block ×20, first 2 shown]
.LBB0_2:
	s_endpgm
	.section	.rodata,"a",@progbits
	.p2align	6, 0x0
	.amdhsa_kernel bluestein_single_back_len320_dim1_dp_op_CI_CI
		.amdhsa_group_segment_fixed_size 20480
		.amdhsa_private_segment_fixed_size 488
		.amdhsa_kernarg_size 104
		.amdhsa_user_sgpr_count 6
		.amdhsa_user_sgpr_private_segment_buffer 1
		.amdhsa_user_sgpr_dispatch_ptr 0
		.amdhsa_user_sgpr_queue_ptr 0
		.amdhsa_user_sgpr_kernarg_segment_ptr 1
		.amdhsa_user_sgpr_dispatch_id 0
		.amdhsa_user_sgpr_flat_scratch_init 0
		.amdhsa_user_sgpr_private_segment_size 0
		.amdhsa_wavefront_size32 1
		.amdhsa_uses_dynamic_stack 0
		.amdhsa_system_sgpr_private_segment_wavefront_offset 1
		.amdhsa_system_sgpr_workgroup_id_x 1
		.amdhsa_system_sgpr_workgroup_id_y 0
		.amdhsa_system_sgpr_workgroup_id_z 0
		.amdhsa_system_sgpr_workgroup_info 0
		.amdhsa_system_vgpr_workitem_id 0
		.amdhsa_next_free_vgpr 256
		.amdhsa_next_free_sgpr 32
		.amdhsa_reserve_vcc 1
		.amdhsa_reserve_flat_scratch 0
		.amdhsa_float_round_mode_32 0
		.amdhsa_float_round_mode_16_64 0
		.amdhsa_float_denorm_mode_32 3
		.amdhsa_float_denorm_mode_16_64 3
		.amdhsa_dx10_clamp 1
		.amdhsa_ieee_mode 1
		.amdhsa_fp16_overflow 0
		.amdhsa_workgroup_processor_mode 1
		.amdhsa_memory_ordered 1
		.amdhsa_forward_progress 0
		.amdhsa_shared_vgpr_count 0
		.amdhsa_exception_fp_ieee_invalid_op 0
		.amdhsa_exception_fp_denorm_src 0
		.amdhsa_exception_fp_ieee_div_zero 0
		.amdhsa_exception_fp_ieee_overflow 0
		.amdhsa_exception_fp_ieee_underflow 0
		.amdhsa_exception_fp_ieee_inexact 0
		.amdhsa_exception_int_div_zero 0
	.end_amdhsa_kernel
	.text
.Lfunc_end0:
	.size	bluestein_single_back_len320_dim1_dp_op_CI_CI, .Lfunc_end0-bluestein_single_back_len320_dim1_dp_op_CI_CI
                                        ; -- End function
	.section	.AMDGPU.csdata,"",@progbits
; Kernel info:
; codeLenInByte = 21752
; NumSgprs: 34
; NumVgprs: 256
; ScratchSize: 488
; MemoryBound: 0
; FloatMode: 240
; IeeeMode: 1
; LDSByteSize: 20480 bytes/workgroup (compile time only)
; SGPRBlocks: 4
; VGPRBlocks: 31
; NumSGPRsForWavesPerEU: 34
; NumVGPRsForWavesPerEU: 256
; Occupancy: 3
; WaveLimiterHint : 1
; COMPUTE_PGM_RSRC2:SCRATCH_EN: 1
; COMPUTE_PGM_RSRC2:USER_SGPR: 6
; COMPUTE_PGM_RSRC2:TRAP_HANDLER: 0
; COMPUTE_PGM_RSRC2:TGID_X_EN: 1
; COMPUTE_PGM_RSRC2:TGID_Y_EN: 0
; COMPUTE_PGM_RSRC2:TGID_Z_EN: 0
; COMPUTE_PGM_RSRC2:TIDIG_COMP_CNT: 0
	.text
	.p2alignl 6, 3214868480
	.fill 48, 4, 3214868480
	.type	__hip_cuid_b269b6c922c80fa8,@object ; @__hip_cuid_b269b6c922c80fa8
	.section	.bss,"aw",@nobits
	.globl	__hip_cuid_b269b6c922c80fa8
__hip_cuid_b269b6c922c80fa8:
	.byte	0                               ; 0x0
	.size	__hip_cuid_b269b6c922c80fa8, 1

	.ident	"AMD clang version 19.0.0git (https://github.com/RadeonOpenCompute/llvm-project roc-6.4.0 25133 c7fe45cf4b819c5991fe208aaa96edf142730f1d)"
	.section	".note.GNU-stack","",@progbits
	.addrsig
	.addrsig_sym __hip_cuid_b269b6c922c80fa8
	.amdgpu_metadata
---
amdhsa.kernels:
  - .args:
      - .actual_access:  read_only
        .address_space:  global
        .offset:         0
        .size:           8
        .value_kind:     global_buffer
      - .actual_access:  read_only
        .address_space:  global
        .offset:         8
        .size:           8
        .value_kind:     global_buffer
      - .actual_access:  read_only
        .address_space:  global
        .offset:         16
        .size:           8
        .value_kind:     global_buffer
      - .actual_access:  read_only
        .address_space:  global
        .offset:         24
        .size:           8
        .value_kind:     global_buffer
      - .actual_access:  read_only
        .address_space:  global
        .offset:         32
        .size:           8
        .value_kind:     global_buffer
      - .offset:         40
        .size:           8
        .value_kind:     by_value
      - .address_space:  global
        .offset:         48
        .size:           8
        .value_kind:     global_buffer
      - .address_space:  global
        .offset:         56
        .size:           8
        .value_kind:     global_buffer
      - .address_space:  global
        .offset:         64
        .size:           8
        .value_kind:     global_buffer
      - .address_space:  global
        .offset:         72
        .size:           8
        .value_kind:     global_buffer
      - .offset:         80
        .size:           4
        .value_kind:     by_value
      - .address_space:  global
        .offset:         88
        .size:           8
        .value_kind:     global_buffer
      - .address_space:  global
        .offset:         96
        .size:           8
        .value_kind:     global_buffer
    .group_segment_fixed_size: 20480
    .kernarg_segment_align: 8
    .kernarg_segment_size: 104
    .language:       OpenCL C
    .language_version:
      - 2
      - 0
    .max_flat_workgroup_size: 64
    .name:           bluestein_single_back_len320_dim1_dp_op_CI_CI
    .private_segment_fixed_size: 488
    .sgpr_count:     34
    .sgpr_spill_count: 0
    .symbol:         bluestein_single_back_len320_dim1_dp_op_CI_CI.kd
    .uniform_work_group_size: 1
    .uses_dynamic_stack: false
    .vgpr_count:     256
    .vgpr_spill_count: 121
    .wavefront_size: 32
    .workgroup_processor_mode: 1
amdhsa.target:   amdgcn-amd-amdhsa--gfx1030
amdhsa.version:
  - 1
  - 2
...

	.end_amdgpu_metadata
